;; amdgpu-corpus repo=ROCm/composable_kernel kind=compiled arch=gfx1201 opt=O3
	.amdgcn_target "amdgcn-amd-amdhsa--gfx1201"
	.amdhsa_code_object_version 6
	.section	.text._ZN2ckL12flush_icacheEv,"axG",@progbits,_ZN2ckL12flush_icacheEv,comdat
	.globl	_ZN2ckL12flush_icacheEv         ; -- Begin function _ZN2ckL12flush_icacheEv
	.p2align	8
	.type	_ZN2ckL12flush_icacheEv,@function
_ZN2ckL12flush_icacheEv:                ; @_ZN2ckL12flush_icacheEv
; %bb.0:
	;;#ASMSTART
	s_icache_inv 
	s_nop 0 
	s_nop 0 
	;; [unrolled: 1-line block ×16, first 2 shown]
	
	;;#ASMEND
	s_endpgm
	.section	.rodata,"a",@progbits
	.p2align	6, 0x0
	.amdhsa_kernel _ZN2ckL12flush_icacheEv
		.amdhsa_group_segment_fixed_size 0
		.amdhsa_private_segment_fixed_size 0
		.amdhsa_kernarg_size 0
		.amdhsa_user_sgpr_count 0
		.amdhsa_user_sgpr_dispatch_ptr 0
		.amdhsa_user_sgpr_queue_ptr 0
		.amdhsa_user_sgpr_kernarg_segment_ptr 0
		.amdhsa_user_sgpr_dispatch_id 0
		.amdhsa_user_sgpr_private_segment_size 0
		.amdhsa_wavefront_size32 1
		.amdhsa_uses_dynamic_stack 0
		.amdhsa_enable_private_segment 0
		.amdhsa_system_sgpr_workgroup_id_x 1
		.amdhsa_system_sgpr_workgroup_id_y 0
		.amdhsa_system_sgpr_workgroup_id_z 0
		.amdhsa_system_sgpr_workgroup_info 0
		.amdhsa_system_vgpr_workitem_id 0
		.amdhsa_next_free_vgpr 1
		.amdhsa_next_free_sgpr 1
		.amdhsa_reserve_vcc 0
		.amdhsa_float_round_mode_32 0
		.amdhsa_float_round_mode_16_64 0
		.amdhsa_float_denorm_mode_32 3
		.amdhsa_float_denorm_mode_16_64 3
		.amdhsa_fp16_overflow 0
		.amdhsa_workgroup_processor_mode 1
		.amdhsa_memory_ordered 1
		.amdhsa_forward_progress 1
		.amdhsa_inst_pref_size 1
		.amdhsa_round_robin_scheduling 0
		.amdhsa_exception_fp_ieee_invalid_op 0
		.amdhsa_exception_fp_denorm_src 0
		.amdhsa_exception_fp_ieee_div_zero 0
		.amdhsa_exception_fp_ieee_overflow 0
		.amdhsa_exception_fp_ieee_underflow 0
		.amdhsa_exception_fp_ieee_inexact 0
		.amdhsa_exception_int_div_zero 0
	.end_amdhsa_kernel
	.section	.text._ZN2ckL12flush_icacheEv,"axG",@progbits,_ZN2ckL12flush_icacheEv,comdat
.Lfunc_end0:
	.size	_ZN2ckL12flush_icacheEv, .Lfunc_end0-_ZN2ckL12flush_icacheEv
                                        ; -- End function
	.set _ZN2ckL12flush_icacheEv.num_vgpr, 0
	.set _ZN2ckL12flush_icacheEv.num_agpr, 0
	.set _ZN2ckL12flush_icacheEv.numbered_sgpr, 0
	.set _ZN2ckL12flush_icacheEv.num_named_barrier, 0
	.set _ZN2ckL12flush_icacheEv.private_seg_size, 0
	.set _ZN2ckL12flush_icacheEv.uses_vcc, 0
	.set _ZN2ckL12flush_icacheEv.uses_flat_scratch, 0
	.set _ZN2ckL12flush_icacheEv.has_dyn_sized_stack, 0
	.set _ZN2ckL12flush_icacheEv.has_recursion, 0
	.set _ZN2ckL12flush_icacheEv.has_indirect_call, 0
	.section	.AMDGPU.csdata,"",@progbits
; Kernel info:
; codeLenInByte = 4
; TotalNumSgprs: 0
; NumVgprs: 0
; ScratchSize: 0
; MemoryBound: 0
; FloatMode: 240
; IeeeMode: 1
; LDSByteSize: 0 bytes/workgroup (compile time only)
; SGPRBlocks: 0
; VGPRBlocks: 0
; NumSGPRsForWavesPerEU: 1
; NumVGPRsForWavesPerEU: 1
; Occupancy: 16
; WaveLimiterHint : 0
; COMPUTE_PGM_RSRC2:SCRATCH_EN: 0
; COMPUTE_PGM_RSRC2:USER_SGPR: 0
; COMPUTE_PGM_RSRC2:TRAP_HANDLER: 0
; COMPUTE_PGM_RSRC2:TGID_X_EN: 1
; COMPUTE_PGM_RSRC2:TGID_Y_EN: 0
; COMPUTE_PGM_RSRC2:TGID_Z_EN: 0
; COMPUTE_PGM_RSRC2:TIDIG_COMP_CNT: 0
	.section	.text._ZN2ck27kernel_gemm_xdl_cshuffle_v1INS_43GridwiseGemm_k0mk1_k0nk1_mn_xdl_cshuffle_v1INS_13tensor_layout4gemm8RowMajorENS3_11ColumnMajorES4_NS_9f8_fnuz_tENS_10bf8_fnuz_tEffDF16_NS_16tensor_operation12element_wise11PassThroughESA_SA_LNS8_6device18GemmSpecializationE0ELNS_25InMemoryDataOperationEnumE0ELi1ELi256ELi256ELi128ELi64ELi16ELi16ELi16ELi16ELi8ELi4ENS_8SequenceIJLi4ELi64ELi1EEEENSE_IJLi1ELi0ELi2EEEESG_Li2ELi16ELi16ELb0ELi1ESF_SG_SG_Li2ELi8ELi8ELb0ELi1ELi1ELi1ENSE_IJLi1ELi32ELi1ELi8EEEELi4ELNS_13LoopSchedulerE0ELNS_15PipelineVersionE0ES6_S7_EELb1EEEvNT_8ArgumentE,"axG",@progbits,_ZN2ck27kernel_gemm_xdl_cshuffle_v1INS_43GridwiseGemm_k0mk1_k0nk1_mn_xdl_cshuffle_v1INS_13tensor_layout4gemm8RowMajorENS3_11ColumnMajorES4_NS_9f8_fnuz_tENS_10bf8_fnuz_tEffDF16_NS_16tensor_operation12element_wise11PassThroughESA_SA_LNS8_6device18GemmSpecializationE0ELNS_25InMemoryDataOperationEnumE0ELi1ELi256ELi256ELi128ELi64ELi16ELi16ELi16ELi16ELi8ELi4ENS_8SequenceIJLi4ELi64ELi1EEEENSE_IJLi1ELi0ELi2EEEESG_Li2ELi16ELi16ELb0ELi1ESF_SG_SG_Li2ELi8ELi8ELb0ELi1ELi1ELi1ENSE_IJLi1ELi32ELi1ELi8EEEELi4ELNS_13LoopSchedulerE0ELNS_15PipelineVersionE0ES6_S7_EELb1EEEvNT_8ArgumentE,comdat
	.protected	_ZN2ck27kernel_gemm_xdl_cshuffle_v1INS_43GridwiseGemm_k0mk1_k0nk1_mn_xdl_cshuffle_v1INS_13tensor_layout4gemm8RowMajorENS3_11ColumnMajorES4_NS_9f8_fnuz_tENS_10bf8_fnuz_tEffDF16_NS_16tensor_operation12element_wise11PassThroughESA_SA_LNS8_6device18GemmSpecializationE0ELNS_25InMemoryDataOperationEnumE0ELi1ELi256ELi256ELi128ELi64ELi16ELi16ELi16ELi16ELi8ELi4ENS_8SequenceIJLi4ELi64ELi1EEEENSE_IJLi1ELi0ELi2EEEESG_Li2ELi16ELi16ELb0ELi1ESF_SG_SG_Li2ELi8ELi8ELb0ELi1ELi1ELi1ENSE_IJLi1ELi32ELi1ELi8EEEELi4ELNS_13LoopSchedulerE0ELNS_15PipelineVersionE0ES6_S7_EELb1EEEvNT_8ArgumentE ; -- Begin function _ZN2ck27kernel_gemm_xdl_cshuffle_v1INS_43GridwiseGemm_k0mk1_k0nk1_mn_xdl_cshuffle_v1INS_13tensor_layout4gemm8RowMajorENS3_11ColumnMajorES4_NS_9f8_fnuz_tENS_10bf8_fnuz_tEffDF16_NS_16tensor_operation12element_wise11PassThroughESA_SA_LNS8_6device18GemmSpecializationE0ELNS_25InMemoryDataOperationEnumE0ELi1ELi256ELi256ELi128ELi64ELi16ELi16ELi16ELi16ELi8ELi4ENS_8SequenceIJLi4ELi64ELi1EEEENSE_IJLi1ELi0ELi2EEEESG_Li2ELi16ELi16ELb0ELi1ESF_SG_SG_Li2ELi8ELi8ELb0ELi1ELi1ELi1ENSE_IJLi1ELi32ELi1ELi8EEEELi4ELNS_13LoopSchedulerE0ELNS_15PipelineVersionE0ES6_S7_EELb1EEEvNT_8ArgumentE
	.globl	_ZN2ck27kernel_gemm_xdl_cshuffle_v1INS_43GridwiseGemm_k0mk1_k0nk1_mn_xdl_cshuffle_v1INS_13tensor_layout4gemm8RowMajorENS3_11ColumnMajorES4_NS_9f8_fnuz_tENS_10bf8_fnuz_tEffDF16_NS_16tensor_operation12element_wise11PassThroughESA_SA_LNS8_6device18GemmSpecializationE0ELNS_25InMemoryDataOperationEnumE0ELi1ELi256ELi256ELi128ELi64ELi16ELi16ELi16ELi16ELi8ELi4ENS_8SequenceIJLi4ELi64ELi1EEEENSE_IJLi1ELi0ELi2EEEESG_Li2ELi16ELi16ELb0ELi1ESF_SG_SG_Li2ELi8ELi8ELb0ELi1ELi1ELi1ENSE_IJLi1ELi32ELi1ELi8EEEELi4ELNS_13LoopSchedulerE0ELNS_15PipelineVersionE0ES6_S7_EELb1EEEvNT_8ArgumentE
	.p2align	8
	.type	_ZN2ck27kernel_gemm_xdl_cshuffle_v1INS_43GridwiseGemm_k0mk1_k0nk1_mn_xdl_cshuffle_v1INS_13tensor_layout4gemm8RowMajorENS3_11ColumnMajorES4_NS_9f8_fnuz_tENS_10bf8_fnuz_tEffDF16_NS_16tensor_operation12element_wise11PassThroughESA_SA_LNS8_6device18GemmSpecializationE0ELNS_25InMemoryDataOperationEnumE0ELi1ELi256ELi256ELi128ELi64ELi16ELi16ELi16ELi16ELi8ELi4ENS_8SequenceIJLi4ELi64ELi1EEEENSE_IJLi1ELi0ELi2EEEESG_Li2ELi16ELi16ELb0ELi1ESF_SG_SG_Li2ELi8ELi8ELb0ELi1ELi1ELi1ENSE_IJLi1ELi32ELi1ELi8EEEELi4ELNS_13LoopSchedulerE0ELNS_15PipelineVersionE0ES6_S7_EELb1EEEvNT_8ArgumentE,@function
_ZN2ck27kernel_gemm_xdl_cshuffle_v1INS_43GridwiseGemm_k0mk1_k0nk1_mn_xdl_cshuffle_v1INS_13tensor_layout4gemm8RowMajorENS3_11ColumnMajorES4_NS_9f8_fnuz_tENS_10bf8_fnuz_tEffDF16_NS_16tensor_operation12element_wise11PassThroughESA_SA_LNS8_6device18GemmSpecializationE0ELNS_25InMemoryDataOperationEnumE0ELi1ELi256ELi256ELi128ELi64ELi16ELi16ELi16ELi16ELi8ELi4ENS_8SequenceIJLi4ELi64ELi1EEEENSE_IJLi1ELi0ELi2EEEESG_Li2ELi16ELi16ELb0ELi1ESF_SG_SG_Li2ELi8ELi8ELb0ELi1ELi1ELi1ENSE_IJLi1ELi32ELi1ELi8EEEELi4ELNS_13LoopSchedulerE0ELNS_15PipelineVersionE0ES6_S7_EELb1EEEvNT_8ArgumentE: ; @_ZN2ck27kernel_gemm_xdl_cshuffle_v1INS_43GridwiseGemm_k0mk1_k0nk1_mn_xdl_cshuffle_v1INS_13tensor_layout4gemm8RowMajorENS3_11ColumnMajorES4_NS_9f8_fnuz_tENS_10bf8_fnuz_tEffDF16_NS_16tensor_operation12element_wise11PassThroughESA_SA_LNS8_6device18GemmSpecializationE0ELNS_25InMemoryDataOperationEnumE0ELi1ELi256ELi256ELi128ELi64ELi16ELi16ELi16ELi16ELi8ELi4ENS_8SequenceIJLi4ELi64ELi1EEEENSE_IJLi1ELi0ELi2EEEESG_Li2ELi16ELi16ELb0ELi1ESF_SG_SG_Li2ELi8ELi8ELb0ELi1ELi1ELi1ENSE_IJLi1ELi32ELi1ELi8EEEELi4ELNS_13LoopSchedulerE0ELNS_15PipelineVersionE0ES6_S7_EELb1EEEvNT_8ArgumentE
; %bb.0:
	s_endpgm
	.section	.rodata,"a",@progbits
	.p2align	6, 0x0
	.amdhsa_kernel _ZN2ck27kernel_gemm_xdl_cshuffle_v1INS_43GridwiseGemm_k0mk1_k0nk1_mn_xdl_cshuffle_v1INS_13tensor_layout4gemm8RowMajorENS3_11ColumnMajorES4_NS_9f8_fnuz_tENS_10bf8_fnuz_tEffDF16_NS_16tensor_operation12element_wise11PassThroughESA_SA_LNS8_6device18GemmSpecializationE0ELNS_25InMemoryDataOperationEnumE0ELi1ELi256ELi256ELi128ELi64ELi16ELi16ELi16ELi16ELi8ELi4ENS_8SequenceIJLi4ELi64ELi1EEEENSE_IJLi1ELi0ELi2EEEESG_Li2ELi16ELi16ELb0ELi1ESF_SG_SG_Li2ELi8ELi8ELb0ELi1ELi1ELi1ENSE_IJLi1ELi32ELi1ELi8EEEELi4ELNS_13LoopSchedulerE0ELNS_15PipelineVersionE0ES6_S7_EELb1EEEvNT_8ArgumentE
		.amdhsa_group_segment_fixed_size 0
		.amdhsa_private_segment_fixed_size 0
		.amdhsa_kernarg_size 96
		.amdhsa_user_sgpr_count 2
		.amdhsa_user_sgpr_dispatch_ptr 0
		.amdhsa_user_sgpr_queue_ptr 0
		.amdhsa_user_sgpr_kernarg_segment_ptr 1
		.amdhsa_user_sgpr_dispatch_id 0
		.amdhsa_user_sgpr_private_segment_size 0
		.amdhsa_wavefront_size32 1
		.amdhsa_uses_dynamic_stack 0
		.amdhsa_enable_private_segment 0
		.amdhsa_system_sgpr_workgroup_id_x 1
		.amdhsa_system_sgpr_workgroup_id_y 0
		.amdhsa_system_sgpr_workgroup_id_z 0
		.amdhsa_system_sgpr_workgroup_info 0
		.amdhsa_system_vgpr_workitem_id 0
		.amdhsa_next_free_vgpr 1
		.amdhsa_next_free_sgpr 1
		.amdhsa_reserve_vcc 0
		.amdhsa_float_round_mode_32 0
		.amdhsa_float_round_mode_16_64 0
		.amdhsa_float_denorm_mode_32 3
		.amdhsa_float_denorm_mode_16_64 3
		.amdhsa_fp16_overflow 0
		.amdhsa_workgroup_processor_mode 1
		.amdhsa_memory_ordered 1
		.amdhsa_forward_progress 1
		.amdhsa_inst_pref_size 1
		.amdhsa_round_robin_scheduling 0
		.amdhsa_exception_fp_ieee_invalid_op 0
		.amdhsa_exception_fp_denorm_src 0
		.amdhsa_exception_fp_ieee_div_zero 0
		.amdhsa_exception_fp_ieee_overflow 0
		.amdhsa_exception_fp_ieee_underflow 0
		.amdhsa_exception_fp_ieee_inexact 0
		.amdhsa_exception_int_div_zero 0
	.end_amdhsa_kernel
	.section	.text._ZN2ck27kernel_gemm_xdl_cshuffle_v1INS_43GridwiseGemm_k0mk1_k0nk1_mn_xdl_cshuffle_v1INS_13tensor_layout4gemm8RowMajorENS3_11ColumnMajorES4_NS_9f8_fnuz_tENS_10bf8_fnuz_tEffDF16_NS_16tensor_operation12element_wise11PassThroughESA_SA_LNS8_6device18GemmSpecializationE0ELNS_25InMemoryDataOperationEnumE0ELi1ELi256ELi256ELi128ELi64ELi16ELi16ELi16ELi16ELi8ELi4ENS_8SequenceIJLi4ELi64ELi1EEEENSE_IJLi1ELi0ELi2EEEESG_Li2ELi16ELi16ELb0ELi1ESF_SG_SG_Li2ELi8ELi8ELb0ELi1ELi1ELi1ENSE_IJLi1ELi32ELi1ELi8EEEELi4ELNS_13LoopSchedulerE0ELNS_15PipelineVersionE0ES6_S7_EELb1EEEvNT_8ArgumentE,"axG",@progbits,_ZN2ck27kernel_gemm_xdl_cshuffle_v1INS_43GridwiseGemm_k0mk1_k0nk1_mn_xdl_cshuffle_v1INS_13tensor_layout4gemm8RowMajorENS3_11ColumnMajorES4_NS_9f8_fnuz_tENS_10bf8_fnuz_tEffDF16_NS_16tensor_operation12element_wise11PassThroughESA_SA_LNS8_6device18GemmSpecializationE0ELNS_25InMemoryDataOperationEnumE0ELi1ELi256ELi256ELi128ELi64ELi16ELi16ELi16ELi16ELi8ELi4ENS_8SequenceIJLi4ELi64ELi1EEEENSE_IJLi1ELi0ELi2EEEESG_Li2ELi16ELi16ELb0ELi1ESF_SG_SG_Li2ELi8ELi8ELb0ELi1ELi1ELi1ENSE_IJLi1ELi32ELi1ELi8EEEELi4ELNS_13LoopSchedulerE0ELNS_15PipelineVersionE0ES6_S7_EELb1EEEvNT_8ArgumentE,comdat
.Lfunc_end1:
	.size	_ZN2ck27kernel_gemm_xdl_cshuffle_v1INS_43GridwiseGemm_k0mk1_k0nk1_mn_xdl_cshuffle_v1INS_13tensor_layout4gemm8RowMajorENS3_11ColumnMajorES4_NS_9f8_fnuz_tENS_10bf8_fnuz_tEffDF16_NS_16tensor_operation12element_wise11PassThroughESA_SA_LNS8_6device18GemmSpecializationE0ELNS_25InMemoryDataOperationEnumE0ELi1ELi256ELi256ELi128ELi64ELi16ELi16ELi16ELi16ELi8ELi4ENS_8SequenceIJLi4ELi64ELi1EEEENSE_IJLi1ELi0ELi2EEEESG_Li2ELi16ELi16ELb0ELi1ESF_SG_SG_Li2ELi8ELi8ELb0ELi1ELi1ELi1ENSE_IJLi1ELi32ELi1ELi8EEEELi4ELNS_13LoopSchedulerE0ELNS_15PipelineVersionE0ES6_S7_EELb1EEEvNT_8ArgumentE, .Lfunc_end1-_ZN2ck27kernel_gemm_xdl_cshuffle_v1INS_43GridwiseGemm_k0mk1_k0nk1_mn_xdl_cshuffle_v1INS_13tensor_layout4gemm8RowMajorENS3_11ColumnMajorES4_NS_9f8_fnuz_tENS_10bf8_fnuz_tEffDF16_NS_16tensor_operation12element_wise11PassThroughESA_SA_LNS8_6device18GemmSpecializationE0ELNS_25InMemoryDataOperationEnumE0ELi1ELi256ELi256ELi128ELi64ELi16ELi16ELi16ELi16ELi8ELi4ENS_8SequenceIJLi4ELi64ELi1EEEENSE_IJLi1ELi0ELi2EEEESG_Li2ELi16ELi16ELb0ELi1ESF_SG_SG_Li2ELi8ELi8ELb0ELi1ELi1ELi1ENSE_IJLi1ELi32ELi1ELi8EEEELi4ELNS_13LoopSchedulerE0ELNS_15PipelineVersionE0ES6_S7_EELb1EEEvNT_8ArgumentE
                                        ; -- End function
	.set _ZN2ck27kernel_gemm_xdl_cshuffle_v1INS_43GridwiseGemm_k0mk1_k0nk1_mn_xdl_cshuffle_v1INS_13tensor_layout4gemm8RowMajorENS3_11ColumnMajorES4_NS_9f8_fnuz_tENS_10bf8_fnuz_tEffDF16_NS_16tensor_operation12element_wise11PassThroughESA_SA_LNS8_6device18GemmSpecializationE0ELNS_25InMemoryDataOperationEnumE0ELi1ELi256ELi256ELi128ELi64ELi16ELi16ELi16ELi16ELi8ELi4ENS_8SequenceIJLi4ELi64ELi1EEEENSE_IJLi1ELi0ELi2EEEESG_Li2ELi16ELi16ELb0ELi1ESF_SG_SG_Li2ELi8ELi8ELb0ELi1ELi1ELi1ENSE_IJLi1ELi32ELi1ELi8EEEELi4ELNS_13LoopSchedulerE0ELNS_15PipelineVersionE0ES6_S7_EELb1EEEvNT_8ArgumentE.num_vgpr, 0
	.set _ZN2ck27kernel_gemm_xdl_cshuffle_v1INS_43GridwiseGemm_k0mk1_k0nk1_mn_xdl_cshuffle_v1INS_13tensor_layout4gemm8RowMajorENS3_11ColumnMajorES4_NS_9f8_fnuz_tENS_10bf8_fnuz_tEffDF16_NS_16tensor_operation12element_wise11PassThroughESA_SA_LNS8_6device18GemmSpecializationE0ELNS_25InMemoryDataOperationEnumE0ELi1ELi256ELi256ELi128ELi64ELi16ELi16ELi16ELi16ELi8ELi4ENS_8SequenceIJLi4ELi64ELi1EEEENSE_IJLi1ELi0ELi2EEEESG_Li2ELi16ELi16ELb0ELi1ESF_SG_SG_Li2ELi8ELi8ELb0ELi1ELi1ELi1ENSE_IJLi1ELi32ELi1ELi8EEEELi4ELNS_13LoopSchedulerE0ELNS_15PipelineVersionE0ES6_S7_EELb1EEEvNT_8ArgumentE.num_agpr, 0
	.set _ZN2ck27kernel_gemm_xdl_cshuffle_v1INS_43GridwiseGemm_k0mk1_k0nk1_mn_xdl_cshuffle_v1INS_13tensor_layout4gemm8RowMajorENS3_11ColumnMajorES4_NS_9f8_fnuz_tENS_10bf8_fnuz_tEffDF16_NS_16tensor_operation12element_wise11PassThroughESA_SA_LNS8_6device18GemmSpecializationE0ELNS_25InMemoryDataOperationEnumE0ELi1ELi256ELi256ELi128ELi64ELi16ELi16ELi16ELi16ELi8ELi4ENS_8SequenceIJLi4ELi64ELi1EEEENSE_IJLi1ELi0ELi2EEEESG_Li2ELi16ELi16ELb0ELi1ESF_SG_SG_Li2ELi8ELi8ELb0ELi1ELi1ELi1ENSE_IJLi1ELi32ELi1ELi8EEEELi4ELNS_13LoopSchedulerE0ELNS_15PipelineVersionE0ES6_S7_EELb1EEEvNT_8ArgumentE.numbered_sgpr, 0
	.set _ZN2ck27kernel_gemm_xdl_cshuffle_v1INS_43GridwiseGemm_k0mk1_k0nk1_mn_xdl_cshuffle_v1INS_13tensor_layout4gemm8RowMajorENS3_11ColumnMajorES4_NS_9f8_fnuz_tENS_10bf8_fnuz_tEffDF16_NS_16tensor_operation12element_wise11PassThroughESA_SA_LNS8_6device18GemmSpecializationE0ELNS_25InMemoryDataOperationEnumE0ELi1ELi256ELi256ELi128ELi64ELi16ELi16ELi16ELi16ELi8ELi4ENS_8SequenceIJLi4ELi64ELi1EEEENSE_IJLi1ELi0ELi2EEEESG_Li2ELi16ELi16ELb0ELi1ESF_SG_SG_Li2ELi8ELi8ELb0ELi1ELi1ELi1ENSE_IJLi1ELi32ELi1ELi8EEEELi4ELNS_13LoopSchedulerE0ELNS_15PipelineVersionE0ES6_S7_EELb1EEEvNT_8ArgumentE.num_named_barrier, 0
	.set _ZN2ck27kernel_gemm_xdl_cshuffle_v1INS_43GridwiseGemm_k0mk1_k0nk1_mn_xdl_cshuffle_v1INS_13tensor_layout4gemm8RowMajorENS3_11ColumnMajorES4_NS_9f8_fnuz_tENS_10bf8_fnuz_tEffDF16_NS_16tensor_operation12element_wise11PassThroughESA_SA_LNS8_6device18GemmSpecializationE0ELNS_25InMemoryDataOperationEnumE0ELi1ELi256ELi256ELi128ELi64ELi16ELi16ELi16ELi16ELi8ELi4ENS_8SequenceIJLi4ELi64ELi1EEEENSE_IJLi1ELi0ELi2EEEESG_Li2ELi16ELi16ELb0ELi1ESF_SG_SG_Li2ELi8ELi8ELb0ELi1ELi1ELi1ENSE_IJLi1ELi32ELi1ELi8EEEELi4ELNS_13LoopSchedulerE0ELNS_15PipelineVersionE0ES6_S7_EELb1EEEvNT_8ArgumentE.private_seg_size, 0
	.set _ZN2ck27kernel_gemm_xdl_cshuffle_v1INS_43GridwiseGemm_k0mk1_k0nk1_mn_xdl_cshuffle_v1INS_13tensor_layout4gemm8RowMajorENS3_11ColumnMajorES4_NS_9f8_fnuz_tENS_10bf8_fnuz_tEffDF16_NS_16tensor_operation12element_wise11PassThroughESA_SA_LNS8_6device18GemmSpecializationE0ELNS_25InMemoryDataOperationEnumE0ELi1ELi256ELi256ELi128ELi64ELi16ELi16ELi16ELi16ELi8ELi4ENS_8SequenceIJLi4ELi64ELi1EEEENSE_IJLi1ELi0ELi2EEEESG_Li2ELi16ELi16ELb0ELi1ESF_SG_SG_Li2ELi8ELi8ELb0ELi1ELi1ELi1ENSE_IJLi1ELi32ELi1ELi8EEEELi4ELNS_13LoopSchedulerE0ELNS_15PipelineVersionE0ES6_S7_EELb1EEEvNT_8ArgumentE.uses_vcc, 0
	.set _ZN2ck27kernel_gemm_xdl_cshuffle_v1INS_43GridwiseGemm_k0mk1_k0nk1_mn_xdl_cshuffle_v1INS_13tensor_layout4gemm8RowMajorENS3_11ColumnMajorES4_NS_9f8_fnuz_tENS_10bf8_fnuz_tEffDF16_NS_16tensor_operation12element_wise11PassThroughESA_SA_LNS8_6device18GemmSpecializationE0ELNS_25InMemoryDataOperationEnumE0ELi1ELi256ELi256ELi128ELi64ELi16ELi16ELi16ELi16ELi8ELi4ENS_8SequenceIJLi4ELi64ELi1EEEENSE_IJLi1ELi0ELi2EEEESG_Li2ELi16ELi16ELb0ELi1ESF_SG_SG_Li2ELi8ELi8ELb0ELi1ELi1ELi1ENSE_IJLi1ELi32ELi1ELi8EEEELi4ELNS_13LoopSchedulerE0ELNS_15PipelineVersionE0ES6_S7_EELb1EEEvNT_8ArgumentE.uses_flat_scratch, 0
	.set _ZN2ck27kernel_gemm_xdl_cshuffle_v1INS_43GridwiseGemm_k0mk1_k0nk1_mn_xdl_cshuffle_v1INS_13tensor_layout4gemm8RowMajorENS3_11ColumnMajorES4_NS_9f8_fnuz_tENS_10bf8_fnuz_tEffDF16_NS_16tensor_operation12element_wise11PassThroughESA_SA_LNS8_6device18GemmSpecializationE0ELNS_25InMemoryDataOperationEnumE0ELi1ELi256ELi256ELi128ELi64ELi16ELi16ELi16ELi16ELi8ELi4ENS_8SequenceIJLi4ELi64ELi1EEEENSE_IJLi1ELi0ELi2EEEESG_Li2ELi16ELi16ELb0ELi1ESF_SG_SG_Li2ELi8ELi8ELb0ELi1ELi1ELi1ENSE_IJLi1ELi32ELi1ELi8EEEELi4ELNS_13LoopSchedulerE0ELNS_15PipelineVersionE0ES6_S7_EELb1EEEvNT_8ArgumentE.has_dyn_sized_stack, 0
	.set _ZN2ck27kernel_gemm_xdl_cshuffle_v1INS_43GridwiseGemm_k0mk1_k0nk1_mn_xdl_cshuffle_v1INS_13tensor_layout4gemm8RowMajorENS3_11ColumnMajorES4_NS_9f8_fnuz_tENS_10bf8_fnuz_tEffDF16_NS_16tensor_operation12element_wise11PassThroughESA_SA_LNS8_6device18GemmSpecializationE0ELNS_25InMemoryDataOperationEnumE0ELi1ELi256ELi256ELi128ELi64ELi16ELi16ELi16ELi16ELi8ELi4ENS_8SequenceIJLi4ELi64ELi1EEEENSE_IJLi1ELi0ELi2EEEESG_Li2ELi16ELi16ELb0ELi1ESF_SG_SG_Li2ELi8ELi8ELb0ELi1ELi1ELi1ENSE_IJLi1ELi32ELi1ELi8EEEELi4ELNS_13LoopSchedulerE0ELNS_15PipelineVersionE0ES6_S7_EELb1EEEvNT_8ArgumentE.has_recursion, 0
	.set _ZN2ck27kernel_gemm_xdl_cshuffle_v1INS_43GridwiseGemm_k0mk1_k0nk1_mn_xdl_cshuffle_v1INS_13tensor_layout4gemm8RowMajorENS3_11ColumnMajorES4_NS_9f8_fnuz_tENS_10bf8_fnuz_tEffDF16_NS_16tensor_operation12element_wise11PassThroughESA_SA_LNS8_6device18GemmSpecializationE0ELNS_25InMemoryDataOperationEnumE0ELi1ELi256ELi256ELi128ELi64ELi16ELi16ELi16ELi16ELi8ELi4ENS_8SequenceIJLi4ELi64ELi1EEEENSE_IJLi1ELi0ELi2EEEESG_Li2ELi16ELi16ELb0ELi1ESF_SG_SG_Li2ELi8ELi8ELb0ELi1ELi1ELi1ENSE_IJLi1ELi32ELi1ELi8EEEELi4ELNS_13LoopSchedulerE0ELNS_15PipelineVersionE0ES6_S7_EELb1EEEvNT_8ArgumentE.has_indirect_call, 0
	.section	.AMDGPU.csdata,"",@progbits
; Kernel info:
; codeLenInByte = 4
; TotalNumSgprs: 0
; NumVgprs: 0
; ScratchSize: 0
; MemoryBound: 0
; FloatMode: 240
; IeeeMode: 1
; LDSByteSize: 0 bytes/workgroup (compile time only)
; SGPRBlocks: 0
; VGPRBlocks: 0
; NumSGPRsForWavesPerEU: 1
; NumVGPRsForWavesPerEU: 1
; Occupancy: 16
; WaveLimiterHint : 0
; COMPUTE_PGM_RSRC2:SCRATCH_EN: 0
; COMPUTE_PGM_RSRC2:USER_SGPR: 2
; COMPUTE_PGM_RSRC2:TRAP_HANDLER: 0
; COMPUTE_PGM_RSRC2:TGID_X_EN: 1
; COMPUTE_PGM_RSRC2:TGID_Y_EN: 0
; COMPUTE_PGM_RSRC2:TGID_Z_EN: 0
; COMPUTE_PGM_RSRC2:TIDIG_COMP_CNT: 0
	.section	.text._ZN2ck27kernel_gemm_xdl_cshuffle_v1INS_43GridwiseGemm_k0mk1_k0nk1_mn_xdl_cshuffle_v1INS_13tensor_layout4gemm8RowMajorENS3_11ColumnMajorES4_NS_9f8_fnuz_tENS_10bf8_fnuz_tEffDF16_NS_16tensor_operation12element_wise11PassThroughESA_SA_LNS8_6device18GemmSpecializationE0ELNS_25InMemoryDataOperationEnumE0ELi1ELi256ELi256ELi128ELi64ELi16ELi16ELi16ELi16ELi8ELi4ENS_8SequenceIJLi4ELi64ELi1EEEENSE_IJLi1ELi0ELi2EEEESG_Li2ELi16ELi16ELb0ELi1ESF_SG_SG_Li2ELi8ELi8ELb0ELi1ELi1ELi1ENSE_IJLi1ELi32ELi1ELi8EEEELi4ELNS_13LoopSchedulerE0ELNS_15PipelineVersionE0ES6_S7_EELb0EEEvNT_8ArgumentE,"axG",@progbits,_ZN2ck27kernel_gemm_xdl_cshuffle_v1INS_43GridwiseGemm_k0mk1_k0nk1_mn_xdl_cshuffle_v1INS_13tensor_layout4gemm8RowMajorENS3_11ColumnMajorES4_NS_9f8_fnuz_tENS_10bf8_fnuz_tEffDF16_NS_16tensor_operation12element_wise11PassThroughESA_SA_LNS8_6device18GemmSpecializationE0ELNS_25InMemoryDataOperationEnumE0ELi1ELi256ELi256ELi128ELi64ELi16ELi16ELi16ELi16ELi8ELi4ENS_8SequenceIJLi4ELi64ELi1EEEENSE_IJLi1ELi0ELi2EEEESG_Li2ELi16ELi16ELb0ELi1ESF_SG_SG_Li2ELi8ELi8ELb0ELi1ELi1ELi1ENSE_IJLi1ELi32ELi1ELi8EEEELi4ELNS_13LoopSchedulerE0ELNS_15PipelineVersionE0ES6_S7_EELb0EEEvNT_8ArgumentE,comdat
	.protected	_ZN2ck27kernel_gemm_xdl_cshuffle_v1INS_43GridwiseGemm_k0mk1_k0nk1_mn_xdl_cshuffle_v1INS_13tensor_layout4gemm8RowMajorENS3_11ColumnMajorES4_NS_9f8_fnuz_tENS_10bf8_fnuz_tEffDF16_NS_16tensor_operation12element_wise11PassThroughESA_SA_LNS8_6device18GemmSpecializationE0ELNS_25InMemoryDataOperationEnumE0ELi1ELi256ELi256ELi128ELi64ELi16ELi16ELi16ELi16ELi8ELi4ENS_8SequenceIJLi4ELi64ELi1EEEENSE_IJLi1ELi0ELi2EEEESG_Li2ELi16ELi16ELb0ELi1ESF_SG_SG_Li2ELi8ELi8ELb0ELi1ELi1ELi1ENSE_IJLi1ELi32ELi1ELi8EEEELi4ELNS_13LoopSchedulerE0ELNS_15PipelineVersionE0ES6_S7_EELb0EEEvNT_8ArgumentE ; -- Begin function _ZN2ck27kernel_gemm_xdl_cshuffle_v1INS_43GridwiseGemm_k0mk1_k0nk1_mn_xdl_cshuffle_v1INS_13tensor_layout4gemm8RowMajorENS3_11ColumnMajorES4_NS_9f8_fnuz_tENS_10bf8_fnuz_tEffDF16_NS_16tensor_operation12element_wise11PassThroughESA_SA_LNS8_6device18GemmSpecializationE0ELNS_25InMemoryDataOperationEnumE0ELi1ELi256ELi256ELi128ELi64ELi16ELi16ELi16ELi16ELi8ELi4ENS_8SequenceIJLi4ELi64ELi1EEEENSE_IJLi1ELi0ELi2EEEESG_Li2ELi16ELi16ELb0ELi1ESF_SG_SG_Li2ELi8ELi8ELb0ELi1ELi1ELi1ENSE_IJLi1ELi32ELi1ELi8EEEELi4ELNS_13LoopSchedulerE0ELNS_15PipelineVersionE0ES6_S7_EELb0EEEvNT_8ArgumentE
	.globl	_ZN2ck27kernel_gemm_xdl_cshuffle_v1INS_43GridwiseGemm_k0mk1_k0nk1_mn_xdl_cshuffle_v1INS_13tensor_layout4gemm8RowMajorENS3_11ColumnMajorES4_NS_9f8_fnuz_tENS_10bf8_fnuz_tEffDF16_NS_16tensor_operation12element_wise11PassThroughESA_SA_LNS8_6device18GemmSpecializationE0ELNS_25InMemoryDataOperationEnumE0ELi1ELi256ELi256ELi128ELi64ELi16ELi16ELi16ELi16ELi8ELi4ENS_8SequenceIJLi4ELi64ELi1EEEENSE_IJLi1ELi0ELi2EEEESG_Li2ELi16ELi16ELb0ELi1ESF_SG_SG_Li2ELi8ELi8ELb0ELi1ELi1ELi1ENSE_IJLi1ELi32ELi1ELi8EEEELi4ELNS_13LoopSchedulerE0ELNS_15PipelineVersionE0ES6_S7_EELb0EEEvNT_8ArgumentE
	.p2align	8
	.type	_ZN2ck27kernel_gemm_xdl_cshuffle_v1INS_43GridwiseGemm_k0mk1_k0nk1_mn_xdl_cshuffle_v1INS_13tensor_layout4gemm8RowMajorENS3_11ColumnMajorES4_NS_9f8_fnuz_tENS_10bf8_fnuz_tEffDF16_NS_16tensor_operation12element_wise11PassThroughESA_SA_LNS8_6device18GemmSpecializationE0ELNS_25InMemoryDataOperationEnumE0ELi1ELi256ELi256ELi128ELi64ELi16ELi16ELi16ELi16ELi8ELi4ENS_8SequenceIJLi4ELi64ELi1EEEENSE_IJLi1ELi0ELi2EEEESG_Li2ELi16ELi16ELb0ELi1ESF_SG_SG_Li2ELi8ELi8ELb0ELi1ELi1ELi1ENSE_IJLi1ELi32ELi1ELi8EEEELi4ELNS_13LoopSchedulerE0ELNS_15PipelineVersionE0ES6_S7_EELb0EEEvNT_8ArgumentE,@function
_ZN2ck27kernel_gemm_xdl_cshuffle_v1INS_43GridwiseGemm_k0mk1_k0nk1_mn_xdl_cshuffle_v1INS_13tensor_layout4gemm8RowMajorENS3_11ColumnMajorES4_NS_9f8_fnuz_tENS_10bf8_fnuz_tEffDF16_NS_16tensor_operation12element_wise11PassThroughESA_SA_LNS8_6device18GemmSpecializationE0ELNS_25InMemoryDataOperationEnumE0ELi1ELi256ELi256ELi128ELi64ELi16ELi16ELi16ELi16ELi8ELi4ENS_8SequenceIJLi4ELi64ELi1EEEENSE_IJLi1ELi0ELi2EEEESG_Li2ELi16ELi16ELb0ELi1ESF_SG_SG_Li2ELi8ELi8ELb0ELi1ELi1ELi1ENSE_IJLi1ELi32ELi1ELi8EEEELi4ELNS_13LoopSchedulerE0ELNS_15PipelineVersionE0ES6_S7_EELb0EEEvNT_8ArgumentE: ; @_ZN2ck27kernel_gemm_xdl_cshuffle_v1INS_43GridwiseGemm_k0mk1_k0nk1_mn_xdl_cshuffle_v1INS_13tensor_layout4gemm8RowMajorENS3_11ColumnMajorES4_NS_9f8_fnuz_tENS_10bf8_fnuz_tEffDF16_NS_16tensor_operation12element_wise11PassThroughESA_SA_LNS8_6device18GemmSpecializationE0ELNS_25InMemoryDataOperationEnumE0ELi1ELi256ELi256ELi128ELi64ELi16ELi16ELi16ELi16ELi8ELi4ENS_8SequenceIJLi4ELi64ELi1EEEENSE_IJLi1ELi0ELi2EEEESG_Li2ELi16ELi16ELb0ELi1ESF_SG_SG_Li2ELi8ELi8ELb0ELi1ELi1ELi1ENSE_IJLi1ELi32ELi1ELi8EEEELi4ELNS_13LoopSchedulerE0ELNS_15PipelineVersionE0ES6_S7_EELb0EEEvNT_8ArgumentE
; %bb.0:
	s_endpgm
	.section	.rodata,"a",@progbits
	.p2align	6, 0x0
	.amdhsa_kernel _ZN2ck27kernel_gemm_xdl_cshuffle_v1INS_43GridwiseGemm_k0mk1_k0nk1_mn_xdl_cshuffle_v1INS_13tensor_layout4gemm8RowMajorENS3_11ColumnMajorES4_NS_9f8_fnuz_tENS_10bf8_fnuz_tEffDF16_NS_16tensor_operation12element_wise11PassThroughESA_SA_LNS8_6device18GemmSpecializationE0ELNS_25InMemoryDataOperationEnumE0ELi1ELi256ELi256ELi128ELi64ELi16ELi16ELi16ELi16ELi8ELi4ENS_8SequenceIJLi4ELi64ELi1EEEENSE_IJLi1ELi0ELi2EEEESG_Li2ELi16ELi16ELb0ELi1ESF_SG_SG_Li2ELi8ELi8ELb0ELi1ELi1ELi1ENSE_IJLi1ELi32ELi1ELi8EEEELi4ELNS_13LoopSchedulerE0ELNS_15PipelineVersionE0ES6_S7_EELb0EEEvNT_8ArgumentE
		.amdhsa_group_segment_fixed_size 0
		.amdhsa_private_segment_fixed_size 0
		.amdhsa_kernarg_size 96
		.amdhsa_user_sgpr_count 2
		.amdhsa_user_sgpr_dispatch_ptr 0
		.amdhsa_user_sgpr_queue_ptr 0
		.amdhsa_user_sgpr_kernarg_segment_ptr 1
		.amdhsa_user_sgpr_dispatch_id 0
		.amdhsa_user_sgpr_private_segment_size 0
		.amdhsa_wavefront_size32 1
		.amdhsa_uses_dynamic_stack 0
		.amdhsa_enable_private_segment 0
		.amdhsa_system_sgpr_workgroup_id_x 1
		.amdhsa_system_sgpr_workgroup_id_y 0
		.amdhsa_system_sgpr_workgroup_id_z 0
		.amdhsa_system_sgpr_workgroup_info 0
		.amdhsa_system_vgpr_workitem_id 0
		.amdhsa_next_free_vgpr 1
		.amdhsa_next_free_sgpr 1
		.amdhsa_reserve_vcc 0
		.amdhsa_float_round_mode_32 0
		.amdhsa_float_round_mode_16_64 0
		.amdhsa_float_denorm_mode_32 3
		.amdhsa_float_denorm_mode_16_64 3
		.amdhsa_fp16_overflow 0
		.amdhsa_workgroup_processor_mode 1
		.amdhsa_memory_ordered 1
		.amdhsa_forward_progress 1
		.amdhsa_inst_pref_size 1
		.amdhsa_round_robin_scheduling 0
		.amdhsa_exception_fp_ieee_invalid_op 0
		.amdhsa_exception_fp_denorm_src 0
		.amdhsa_exception_fp_ieee_div_zero 0
		.amdhsa_exception_fp_ieee_overflow 0
		.amdhsa_exception_fp_ieee_underflow 0
		.amdhsa_exception_fp_ieee_inexact 0
		.amdhsa_exception_int_div_zero 0
	.end_amdhsa_kernel
	.section	.text._ZN2ck27kernel_gemm_xdl_cshuffle_v1INS_43GridwiseGemm_k0mk1_k0nk1_mn_xdl_cshuffle_v1INS_13tensor_layout4gemm8RowMajorENS3_11ColumnMajorES4_NS_9f8_fnuz_tENS_10bf8_fnuz_tEffDF16_NS_16tensor_operation12element_wise11PassThroughESA_SA_LNS8_6device18GemmSpecializationE0ELNS_25InMemoryDataOperationEnumE0ELi1ELi256ELi256ELi128ELi64ELi16ELi16ELi16ELi16ELi8ELi4ENS_8SequenceIJLi4ELi64ELi1EEEENSE_IJLi1ELi0ELi2EEEESG_Li2ELi16ELi16ELb0ELi1ESF_SG_SG_Li2ELi8ELi8ELb0ELi1ELi1ELi1ENSE_IJLi1ELi32ELi1ELi8EEEELi4ELNS_13LoopSchedulerE0ELNS_15PipelineVersionE0ES6_S7_EELb0EEEvNT_8ArgumentE,"axG",@progbits,_ZN2ck27kernel_gemm_xdl_cshuffle_v1INS_43GridwiseGemm_k0mk1_k0nk1_mn_xdl_cshuffle_v1INS_13tensor_layout4gemm8RowMajorENS3_11ColumnMajorES4_NS_9f8_fnuz_tENS_10bf8_fnuz_tEffDF16_NS_16tensor_operation12element_wise11PassThroughESA_SA_LNS8_6device18GemmSpecializationE0ELNS_25InMemoryDataOperationEnumE0ELi1ELi256ELi256ELi128ELi64ELi16ELi16ELi16ELi16ELi8ELi4ENS_8SequenceIJLi4ELi64ELi1EEEENSE_IJLi1ELi0ELi2EEEESG_Li2ELi16ELi16ELb0ELi1ESF_SG_SG_Li2ELi8ELi8ELb0ELi1ELi1ELi1ENSE_IJLi1ELi32ELi1ELi8EEEELi4ELNS_13LoopSchedulerE0ELNS_15PipelineVersionE0ES6_S7_EELb0EEEvNT_8ArgumentE,comdat
.Lfunc_end2:
	.size	_ZN2ck27kernel_gemm_xdl_cshuffle_v1INS_43GridwiseGemm_k0mk1_k0nk1_mn_xdl_cshuffle_v1INS_13tensor_layout4gemm8RowMajorENS3_11ColumnMajorES4_NS_9f8_fnuz_tENS_10bf8_fnuz_tEffDF16_NS_16tensor_operation12element_wise11PassThroughESA_SA_LNS8_6device18GemmSpecializationE0ELNS_25InMemoryDataOperationEnumE0ELi1ELi256ELi256ELi128ELi64ELi16ELi16ELi16ELi16ELi8ELi4ENS_8SequenceIJLi4ELi64ELi1EEEENSE_IJLi1ELi0ELi2EEEESG_Li2ELi16ELi16ELb0ELi1ESF_SG_SG_Li2ELi8ELi8ELb0ELi1ELi1ELi1ENSE_IJLi1ELi32ELi1ELi8EEEELi4ELNS_13LoopSchedulerE0ELNS_15PipelineVersionE0ES6_S7_EELb0EEEvNT_8ArgumentE, .Lfunc_end2-_ZN2ck27kernel_gemm_xdl_cshuffle_v1INS_43GridwiseGemm_k0mk1_k0nk1_mn_xdl_cshuffle_v1INS_13tensor_layout4gemm8RowMajorENS3_11ColumnMajorES4_NS_9f8_fnuz_tENS_10bf8_fnuz_tEffDF16_NS_16tensor_operation12element_wise11PassThroughESA_SA_LNS8_6device18GemmSpecializationE0ELNS_25InMemoryDataOperationEnumE0ELi1ELi256ELi256ELi128ELi64ELi16ELi16ELi16ELi16ELi8ELi4ENS_8SequenceIJLi4ELi64ELi1EEEENSE_IJLi1ELi0ELi2EEEESG_Li2ELi16ELi16ELb0ELi1ESF_SG_SG_Li2ELi8ELi8ELb0ELi1ELi1ELi1ENSE_IJLi1ELi32ELi1ELi8EEEELi4ELNS_13LoopSchedulerE0ELNS_15PipelineVersionE0ES6_S7_EELb0EEEvNT_8ArgumentE
                                        ; -- End function
	.set _ZN2ck27kernel_gemm_xdl_cshuffle_v1INS_43GridwiseGemm_k0mk1_k0nk1_mn_xdl_cshuffle_v1INS_13tensor_layout4gemm8RowMajorENS3_11ColumnMajorES4_NS_9f8_fnuz_tENS_10bf8_fnuz_tEffDF16_NS_16tensor_operation12element_wise11PassThroughESA_SA_LNS8_6device18GemmSpecializationE0ELNS_25InMemoryDataOperationEnumE0ELi1ELi256ELi256ELi128ELi64ELi16ELi16ELi16ELi16ELi8ELi4ENS_8SequenceIJLi4ELi64ELi1EEEENSE_IJLi1ELi0ELi2EEEESG_Li2ELi16ELi16ELb0ELi1ESF_SG_SG_Li2ELi8ELi8ELb0ELi1ELi1ELi1ENSE_IJLi1ELi32ELi1ELi8EEEELi4ELNS_13LoopSchedulerE0ELNS_15PipelineVersionE0ES6_S7_EELb0EEEvNT_8ArgumentE.num_vgpr, 0
	.set _ZN2ck27kernel_gemm_xdl_cshuffle_v1INS_43GridwiseGemm_k0mk1_k0nk1_mn_xdl_cshuffle_v1INS_13tensor_layout4gemm8RowMajorENS3_11ColumnMajorES4_NS_9f8_fnuz_tENS_10bf8_fnuz_tEffDF16_NS_16tensor_operation12element_wise11PassThroughESA_SA_LNS8_6device18GemmSpecializationE0ELNS_25InMemoryDataOperationEnumE0ELi1ELi256ELi256ELi128ELi64ELi16ELi16ELi16ELi16ELi8ELi4ENS_8SequenceIJLi4ELi64ELi1EEEENSE_IJLi1ELi0ELi2EEEESG_Li2ELi16ELi16ELb0ELi1ESF_SG_SG_Li2ELi8ELi8ELb0ELi1ELi1ELi1ENSE_IJLi1ELi32ELi1ELi8EEEELi4ELNS_13LoopSchedulerE0ELNS_15PipelineVersionE0ES6_S7_EELb0EEEvNT_8ArgumentE.num_agpr, 0
	.set _ZN2ck27kernel_gemm_xdl_cshuffle_v1INS_43GridwiseGemm_k0mk1_k0nk1_mn_xdl_cshuffle_v1INS_13tensor_layout4gemm8RowMajorENS3_11ColumnMajorES4_NS_9f8_fnuz_tENS_10bf8_fnuz_tEffDF16_NS_16tensor_operation12element_wise11PassThroughESA_SA_LNS8_6device18GemmSpecializationE0ELNS_25InMemoryDataOperationEnumE0ELi1ELi256ELi256ELi128ELi64ELi16ELi16ELi16ELi16ELi8ELi4ENS_8SequenceIJLi4ELi64ELi1EEEENSE_IJLi1ELi0ELi2EEEESG_Li2ELi16ELi16ELb0ELi1ESF_SG_SG_Li2ELi8ELi8ELb0ELi1ELi1ELi1ENSE_IJLi1ELi32ELi1ELi8EEEELi4ELNS_13LoopSchedulerE0ELNS_15PipelineVersionE0ES6_S7_EELb0EEEvNT_8ArgumentE.numbered_sgpr, 0
	.set _ZN2ck27kernel_gemm_xdl_cshuffle_v1INS_43GridwiseGemm_k0mk1_k0nk1_mn_xdl_cshuffle_v1INS_13tensor_layout4gemm8RowMajorENS3_11ColumnMajorES4_NS_9f8_fnuz_tENS_10bf8_fnuz_tEffDF16_NS_16tensor_operation12element_wise11PassThroughESA_SA_LNS8_6device18GemmSpecializationE0ELNS_25InMemoryDataOperationEnumE0ELi1ELi256ELi256ELi128ELi64ELi16ELi16ELi16ELi16ELi8ELi4ENS_8SequenceIJLi4ELi64ELi1EEEENSE_IJLi1ELi0ELi2EEEESG_Li2ELi16ELi16ELb0ELi1ESF_SG_SG_Li2ELi8ELi8ELb0ELi1ELi1ELi1ENSE_IJLi1ELi32ELi1ELi8EEEELi4ELNS_13LoopSchedulerE0ELNS_15PipelineVersionE0ES6_S7_EELb0EEEvNT_8ArgumentE.num_named_barrier, 0
	.set _ZN2ck27kernel_gemm_xdl_cshuffle_v1INS_43GridwiseGemm_k0mk1_k0nk1_mn_xdl_cshuffle_v1INS_13tensor_layout4gemm8RowMajorENS3_11ColumnMajorES4_NS_9f8_fnuz_tENS_10bf8_fnuz_tEffDF16_NS_16tensor_operation12element_wise11PassThroughESA_SA_LNS8_6device18GemmSpecializationE0ELNS_25InMemoryDataOperationEnumE0ELi1ELi256ELi256ELi128ELi64ELi16ELi16ELi16ELi16ELi8ELi4ENS_8SequenceIJLi4ELi64ELi1EEEENSE_IJLi1ELi0ELi2EEEESG_Li2ELi16ELi16ELb0ELi1ESF_SG_SG_Li2ELi8ELi8ELb0ELi1ELi1ELi1ENSE_IJLi1ELi32ELi1ELi8EEEELi4ELNS_13LoopSchedulerE0ELNS_15PipelineVersionE0ES6_S7_EELb0EEEvNT_8ArgumentE.private_seg_size, 0
	.set _ZN2ck27kernel_gemm_xdl_cshuffle_v1INS_43GridwiseGemm_k0mk1_k0nk1_mn_xdl_cshuffle_v1INS_13tensor_layout4gemm8RowMajorENS3_11ColumnMajorES4_NS_9f8_fnuz_tENS_10bf8_fnuz_tEffDF16_NS_16tensor_operation12element_wise11PassThroughESA_SA_LNS8_6device18GemmSpecializationE0ELNS_25InMemoryDataOperationEnumE0ELi1ELi256ELi256ELi128ELi64ELi16ELi16ELi16ELi16ELi8ELi4ENS_8SequenceIJLi4ELi64ELi1EEEENSE_IJLi1ELi0ELi2EEEESG_Li2ELi16ELi16ELb0ELi1ESF_SG_SG_Li2ELi8ELi8ELb0ELi1ELi1ELi1ENSE_IJLi1ELi32ELi1ELi8EEEELi4ELNS_13LoopSchedulerE0ELNS_15PipelineVersionE0ES6_S7_EELb0EEEvNT_8ArgumentE.uses_vcc, 0
	.set _ZN2ck27kernel_gemm_xdl_cshuffle_v1INS_43GridwiseGemm_k0mk1_k0nk1_mn_xdl_cshuffle_v1INS_13tensor_layout4gemm8RowMajorENS3_11ColumnMajorES4_NS_9f8_fnuz_tENS_10bf8_fnuz_tEffDF16_NS_16tensor_operation12element_wise11PassThroughESA_SA_LNS8_6device18GemmSpecializationE0ELNS_25InMemoryDataOperationEnumE0ELi1ELi256ELi256ELi128ELi64ELi16ELi16ELi16ELi16ELi8ELi4ENS_8SequenceIJLi4ELi64ELi1EEEENSE_IJLi1ELi0ELi2EEEESG_Li2ELi16ELi16ELb0ELi1ESF_SG_SG_Li2ELi8ELi8ELb0ELi1ELi1ELi1ENSE_IJLi1ELi32ELi1ELi8EEEELi4ELNS_13LoopSchedulerE0ELNS_15PipelineVersionE0ES6_S7_EELb0EEEvNT_8ArgumentE.uses_flat_scratch, 0
	.set _ZN2ck27kernel_gemm_xdl_cshuffle_v1INS_43GridwiseGemm_k0mk1_k0nk1_mn_xdl_cshuffle_v1INS_13tensor_layout4gemm8RowMajorENS3_11ColumnMajorES4_NS_9f8_fnuz_tENS_10bf8_fnuz_tEffDF16_NS_16tensor_operation12element_wise11PassThroughESA_SA_LNS8_6device18GemmSpecializationE0ELNS_25InMemoryDataOperationEnumE0ELi1ELi256ELi256ELi128ELi64ELi16ELi16ELi16ELi16ELi8ELi4ENS_8SequenceIJLi4ELi64ELi1EEEENSE_IJLi1ELi0ELi2EEEESG_Li2ELi16ELi16ELb0ELi1ESF_SG_SG_Li2ELi8ELi8ELb0ELi1ELi1ELi1ENSE_IJLi1ELi32ELi1ELi8EEEELi4ELNS_13LoopSchedulerE0ELNS_15PipelineVersionE0ES6_S7_EELb0EEEvNT_8ArgumentE.has_dyn_sized_stack, 0
	.set _ZN2ck27kernel_gemm_xdl_cshuffle_v1INS_43GridwiseGemm_k0mk1_k0nk1_mn_xdl_cshuffle_v1INS_13tensor_layout4gemm8RowMajorENS3_11ColumnMajorES4_NS_9f8_fnuz_tENS_10bf8_fnuz_tEffDF16_NS_16tensor_operation12element_wise11PassThroughESA_SA_LNS8_6device18GemmSpecializationE0ELNS_25InMemoryDataOperationEnumE0ELi1ELi256ELi256ELi128ELi64ELi16ELi16ELi16ELi16ELi8ELi4ENS_8SequenceIJLi4ELi64ELi1EEEENSE_IJLi1ELi0ELi2EEEESG_Li2ELi16ELi16ELb0ELi1ESF_SG_SG_Li2ELi8ELi8ELb0ELi1ELi1ELi1ENSE_IJLi1ELi32ELi1ELi8EEEELi4ELNS_13LoopSchedulerE0ELNS_15PipelineVersionE0ES6_S7_EELb0EEEvNT_8ArgumentE.has_recursion, 0
	.set _ZN2ck27kernel_gemm_xdl_cshuffle_v1INS_43GridwiseGemm_k0mk1_k0nk1_mn_xdl_cshuffle_v1INS_13tensor_layout4gemm8RowMajorENS3_11ColumnMajorES4_NS_9f8_fnuz_tENS_10bf8_fnuz_tEffDF16_NS_16tensor_operation12element_wise11PassThroughESA_SA_LNS8_6device18GemmSpecializationE0ELNS_25InMemoryDataOperationEnumE0ELi1ELi256ELi256ELi128ELi64ELi16ELi16ELi16ELi16ELi8ELi4ENS_8SequenceIJLi4ELi64ELi1EEEENSE_IJLi1ELi0ELi2EEEESG_Li2ELi16ELi16ELb0ELi1ESF_SG_SG_Li2ELi8ELi8ELb0ELi1ELi1ELi1ENSE_IJLi1ELi32ELi1ELi8EEEELi4ELNS_13LoopSchedulerE0ELNS_15PipelineVersionE0ES6_S7_EELb0EEEvNT_8ArgumentE.has_indirect_call, 0
	.section	.AMDGPU.csdata,"",@progbits
; Kernel info:
; codeLenInByte = 4
; TotalNumSgprs: 0
; NumVgprs: 0
; ScratchSize: 0
; MemoryBound: 0
; FloatMode: 240
; IeeeMode: 1
; LDSByteSize: 0 bytes/workgroup (compile time only)
; SGPRBlocks: 0
; VGPRBlocks: 0
; NumSGPRsForWavesPerEU: 1
; NumVGPRsForWavesPerEU: 1
; Occupancy: 16
; WaveLimiterHint : 0
; COMPUTE_PGM_RSRC2:SCRATCH_EN: 0
; COMPUTE_PGM_RSRC2:USER_SGPR: 2
; COMPUTE_PGM_RSRC2:TRAP_HANDLER: 0
; COMPUTE_PGM_RSRC2:TGID_X_EN: 1
; COMPUTE_PGM_RSRC2:TGID_Y_EN: 0
; COMPUTE_PGM_RSRC2:TGID_Z_EN: 0
; COMPUTE_PGM_RSRC2:TIDIG_COMP_CNT: 0
	.section	.text._ZN2ck27kernel_gemm_xdl_cshuffle_v1INS_43GridwiseGemm_k0mk1_k0nk1_mn_xdl_cshuffle_v1INS_13tensor_layout4gemm8RowMajorENS3_11ColumnMajorES4_NS_9f8_fnuz_tENS_10bf8_fnuz_tEffDF16_NS_16tensor_operation12element_wise11PassThroughESA_SA_LNS8_6device18GemmSpecializationE0ELNS_25InMemoryDataOperationEnumE0ELi1ELi256ELi256ELi128ELi64ELi16ELi16ELi16ELi16ELi8ELi2ENS_8SequenceIJLi4ELi64ELi1EEEENSE_IJLi1ELi0ELi2EEEESG_Li2ELi16ELi16ELb0ELi1ESF_SG_SG_Li2ELi8ELi8ELb0ELi1ELi1ELi1ENSE_IJLi1ELi32ELi1ELi8EEEELi4ELNS_13LoopSchedulerE0ELNS_15PipelineVersionE0ES6_S7_EELb1EEEvNT_8ArgumentE,"axG",@progbits,_ZN2ck27kernel_gemm_xdl_cshuffle_v1INS_43GridwiseGemm_k0mk1_k0nk1_mn_xdl_cshuffle_v1INS_13tensor_layout4gemm8RowMajorENS3_11ColumnMajorES4_NS_9f8_fnuz_tENS_10bf8_fnuz_tEffDF16_NS_16tensor_operation12element_wise11PassThroughESA_SA_LNS8_6device18GemmSpecializationE0ELNS_25InMemoryDataOperationEnumE0ELi1ELi256ELi256ELi128ELi64ELi16ELi16ELi16ELi16ELi8ELi2ENS_8SequenceIJLi4ELi64ELi1EEEENSE_IJLi1ELi0ELi2EEEESG_Li2ELi16ELi16ELb0ELi1ESF_SG_SG_Li2ELi8ELi8ELb0ELi1ELi1ELi1ENSE_IJLi1ELi32ELi1ELi8EEEELi4ELNS_13LoopSchedulerE0ELNS_15PipelineVersionE0ES6_S7_EELb1EEEvNT_8ArgumentE,comdat
	.protected	_ZN2ck27kernel_gemm_xdl_cshuffle_v1INS_43GridwiseGemm_k0mk1_k0nk1_mn_xdl_cshuffle_v1INS_13tensor_layout4gemm8RowMajorENS3_11ColumnMajorES4_NS_9f8_fnuz_tENS_10bf8_fnuz_tEffDF16_NS_16tensor_operation12element_wise11PassThroughESA_SA_LNS8_6device18GemmSpecializationE0ELNS_25InMemoryDataOperationEnumE0ELi1ELi256ELi256ELi128ELi64ELi16ELi16ELi16ELi16ELi8ELi2ENS_8SequenceIJLi4ELi64ELi1EEEENSE_IJLi1ELi0ELi2EEEESG_Li2ELi16ELi16ELb0ELi1ESF_SG_SG_Li2ELi8ELi8ELb0ELi1ELi1ELi1ENSE_IJLi1ELi32ELi1ELi8EEEELi4ELNS_13LoopSchedulerE0ELNS_15PipelineVersionE0ES6_S7_EELb1EEEvNT_8ArgumentE ; -- Begin function _ZN2ck27kernel_gemm_xdl_cshuffle_v1INS_43GridwiseGemm_k0mk1_k0nk1_mn_xdl_cshuffle_v1INS_13tensor_layout4gemm8RowMajorENS3_11ColumnMajorES4_NS_9f8_fnuz_tENS_10bf8_fnuz_tEffDF16_NS_16tensor_operation12element_wise11PassThroughESA_SA_LNS8_6device18GemmSpecializationE0ELNS_25InMemoryDataOperationEnumE0ELi1ELi256ELi256ELi128ELi64ELi16ELi16ELi16ELi16ELi8ELi2ENS_8SequenceIJLi4ELi64ELi1EEEENSE_IJLi1ELi0ELi2EEEESG_Li2ELi16ELi16ELb0ELi1ESF_SG_SG_Li2ELi8ELi8ELb0ELi1ELi1ELi1ENSE_IJLi1ELi32ELi1ELi8EEEELi4ELNS_13LoopSchedulerE0ELNS_15PipelineVersionE0ES6_S7_EELb1EEEvNT_8ArgumentE
	.globl	_ZN2ck27kernel_gemm_xdl_cshuffle_v1INS_43GridwiseGemm_k0mk1_k0nk1_mn_xdl_cshuffle_v1INS_13tensor_layout4gemm8RowMajorENS3_11ColumnMajorES4_NS_9f8_fnuz_tENS_10bf8_fnuz_tEffDF16_NS_16tensor_operation12element_wise11PassThroughESA_SA_LNS8_6device18GemmSpecializationE0ELNS_25InMemoryDataOperationEnumE0ELi1ELi256ELi256ELi128ELi64ELi16ELi16ELi16ELi16ELi8ELi2ENS_8SequenceIJLi4ELi64ELi1EEEENSE_IJLi1ELi0ELi2EEEESG_Li2ELi16ELi16ELb0ELi1ESF_SG_SG_Li2ELi8ELi8ELb0ELi1ELi1ELi1ENSE_IJLi1ELi32ELi1ELi8EEEELi4ELNS_13LoopSchedulerE0ELNS_15PipelineVersionE0ES6_S7_EELb1EEEvNT_8ArgumentE
	.p2align	8
	.type	_ZN2ck27kernel_gemm_xdl_cshuffle_v1INS_43GridwiseGemm_k0mk1_k0nk1_mn_xdl_cshuffle_v1INS_13tensor_layout4gemm8RowMajorENS3_11ColumnMajorES4_NS_9f8_fnuz_tENS_10bf8_fnuz_tEffDF16_NS_16tensor_operation12element_wise11PassThroughESA_SA_LNS8_6device18GemmSpecializationE0ELNS_25InMemoryDataOperationEnumE0ELi1ELi256ELi256ELi128ELi64ELi16ELi16ELi16ELi16ELi8ELi2ENS_8SequenceIJLi4ELi64ELi1EEEENSE_IJLi1ELi0ELi2EEEESG_Li2ELi16ELi16ELb0ELi1ESF_SG_SG_Li2ELi8ELi8ELb0ELi1ELi1ELi1ENSE_IJLi1ELi32ELi1ELi8EEEELi4ELNS_13LoopSchedulerE0ELNS_15PipelineVersionE0ES6_S7_EELb1EEEvNT_8ArgumentE,@function
_ZN2ck27kernel_gemm_xdl_cshuffle_v1INS_43GridwiseGemm_k0mk1_k0nk1_mn_xdl_cshuffle_v1INS_13tensor_layout4gemm8RowMajorENS3_11ColumnMajorES4_NS_9f8_fnuz_tENS_10bf8_fnuz_tEffDF16_NS_16tensor_operation12element_wise11PassThroughESA_SA_LNS8_6device18GemmSpecializationE0ELNS_25InMemoryDataOperationEnumE0ELi1ELi256ELi256ELi128ELi64ELi16ELi16ELi16ELi16ELi8ELi2ENS_8SequenceIJLi4ELi64ELi1EEEENSE_IJLi1ELi0ELi2EEEESG_Li2ELi16ELi16ELb0ELi1ESF_SG_SG_Li2ELi8ELi8ELb0ELi1ELi1ELi1ENSE_IJLi1ELi32ELi1ELi8EEEELi4ELNS_13LoopSchedulerE0ELNS_15PipelineVersionE0ES6_S7_EELb1EEEvNT_8ArgumentE: ; @_ZN2ck27kernel_gemm_xdl_cshuffle_v1INS_43GridwiseGemm_k0mk1_k0nk1_mn_xdl_cshuffle_v1INS_13tensor_layout4gemm8RowMajorENS3_11ColumnMajorES4_NS_9f8_fnuz_tENS_10bf8_fnuz_tEffDF16_NS_16tensor_operation12element_wise11PassThroughESA_SA_LNS8_6device18GemmSpecializationE0ELNS_25InMemoryDataOperationEnumE0ELi1ELi256ELi256ELi128ELi64ELi16ELi16ELi16ELi16ELi8ELi2ENS_8SequenceIJLi4ELi64ELi1EEEENSE_IJLi1ELi0ELi2EEEESG_Li2ELi16ELi16ELb0ELi1ESF_SG_SG_Li2ELi8ELi8ELb0ELi1ELi1ELi1ENSE_IJLi1ELi32ELi1ELi8EEEELi4ELNS_13LoopSchedulerE0ELNS_15PipelineVersionE0ES6_S7_EELb1EEEvNT_8ArgumentE
; %bb.0:
	s_clause 0x1
	s_load_b128 s[4:7], s[0:1], 0x10
	s_load_b64 s[20:21], s[0:1], 0x20
	s_abs_i32 s11, ttmp9
	v_lshrrev_b32_e32 v131, 1, v0
	v_dual_mov_b32 v8, 0 :: v_dual_and_b32 v129, 0xfc, v0
	v_and_b32_e32 v130, 3, v0
	s_mov_b32 s17, 0
	s_delay_alu instid0(VALU_DEP_3)
	v_and_b32_e32 v128, 0x7e, v131
	s_mov_b32 s22, s17
	v_mov_b32_e32 v9, v8
	v_dual_mov_b32 v11, v8 :: v_dual_lshlrev_b32 v136, 4, v130
	v_mov_b32_e32 v13, v8
	s_mov_b32 s26, s17
	v_lshrrev_b32_e32 v132, 3, v0
	v_dual_mov_b32 v124, v8 :: v_dual_and_b32 v133, 15, v0
	v_dual_mov_b32 v7, v8 :: v_dual_lshlrev_b32 v134, 3, v0
	s_wait_kmcnt 0x0
	s_add_co_i32 s2, s4, 0xff
	s_add_co_i32 s3, s5, 0x7f
	s_ashr_i32 s8, s2, 31
	s_ashr_i32 s9, s3, 31
	s_lshr_b32 s8, s8, 24
	s_lshr_b32 s9, s9, 25
	s_add_co_i32 s2, s2, s8
	s_add_co_i32 s3, s3, s9
	s_ashr_i32 s2, s2, 8
	s_ashr_i32 s3, s3, 7
	s_add_co_i32 s23, s4, -1
	s_mul_i32 s8, s3, s2
	s_add_co_i32 s13, s5, -1
	s_abs_i32 s8, s8
	s_mov_b32 s16, s7
	s_cvt_f32_u32 s9, s8
	s_sub_co_i32 s10, 0, s8
	s_mul_u64 s[30:31], s[22:23], s[16:17]
	s_mov_b32 s16, s20
	v_rcp_iflag_f32_e32 v1, s9
	s_mov_b32 s27, s6
	v_dual_mov_b32 v0, v8 :: v_dual_and_b32 v139, 2, v132
	v_lshlrev_b32_e32 v140, 4, v133
	v_mov_b32_e32 v122, v8
	v_mul_u32_u24_e32 v138, 0x1010, v130
	v_and_or_b32 v141, v132, 16, v133
	v_mul_u32_u24_e32 v168, 0x810, v130
	v_mul_u32_u24_e32 v169, 0x1010, v139
	s_delay_alu instid0(TRANS32_DEP_1)
	v_readfirstlane_b32 s9, v1
	v_mul_u32_u24_e32 v139, 0x810, v139
	v_and_or_b32 v170, 0x300, v134, v140
	v_or3_b32 v137, 0, 0, 0
	v_mov_b32_e32 v126, v8
	s_mul_f32 s9, s9, 0x4f7ffffe
	v_dual_mov_b32 v16, v8 :: v_dual_mov_b32 v23, v8
	v_add_nc_u32_e32 v139, v170, v139
	s_wait_alu 0xfffe
	s_cvt_u32_f32 s9, s9
	v_dual_mov_b32 v18, v8 :: v_dual_mov_b32 v25, v8
	v_dual_mov_b32 v20, v8 :: v_dual_mov_b32 v27, v8
	s_wait_alu 0xfffe
	s_mul_i32 s10, s10, s9
	v_dual_mov_b32 v22, v8 :: v_dual_mov_b32 v29, v8
	s_mul_hi_u32 s10, s9, s10
	v_dual_mov_b32 v24, v8 :: v_dual_mov_b32 v31, v8
	s_add_co_i32 s9, s9, s10
	s_ashr_i32 s10, ttmp9, 31
	s_wait_alu 0xfffe
	s_mul_hi_u32 s9, s11, s9
	v_dual_mov_b32 v26, v8 :: v_dual_mov_b32 v41, v8
	s_wait_alu 0xfffe
	s_mul_i32 s9, s9, s8
	v_dual_mov_b32 v28, v8 :: v_dual_mov_b32 v43, v8
	s_wait_alu 0xfffe
	s_sub_co_i32 s4, s11, s9
	v_dual_mov_b32 v30, v8 :: v_dual_mov_b32 v45, v8
	s_sub_co_i32 s9, s4, s8
	s_cmp_ge_u32 s4, s8
	v_dual_mov_b32 v40, v8 :: v_dual_mov_b32 v47, v8
	s_wait_alu 0xfffe
	s_cselect_b32 s4, s9, s4
	v_dual_mov_b32 v42, v8 :: v_dual_mov_b32 v33, v8
	s_sub_co_i32 s9, s4, s8
	s_cmp_ge_u32 s4, s8
	v_dual_mov_b32 v44, v8 :: v_dual_mov_b32 v35, v8
	s_wait_alu 0xfffe
	s_cselect_b32 s4, s9, s4
	s_abs_i32 s8, s3
	s_xor_b32 s4, s4, s10
	s_wait_alu 0xfffe
	s_cvt_f32_u32 s9, s8
	s_sub_co_i32 s11, 0, s8
	s_sub_co_i32 s4, s4, s10
	v_dual_mov_b32 v46, v8 :: v_dual_mov_b32 v37, v8
	s_wait_alu 0xfffe
	v_rcp_iflag_f32_e32 v1, s9
	v_dual_mov_b32 v32, v8 :: v_dual_mov_b32 v39, v8
	v_dual_mov_b32 v34, v8 :: v_dual_mov_b32 v49, v8
	;; [unrolled: 1-line block ×5, first 2 shown]
	s_delay_alu instid0(TRANS32_DEP_1)
	v_readfirstlane_b32 s9, v1
	v_dual_mov_b32 v50, v8 :: v_dual_mov_b32 v57, v8
	v_dual_mov_b32 v52, v8 :: v_dual_mov_b32 v59, v8
	s_mul_f32 s9, s9, 0x4f7ffffe
	v_dual_mov_b32 v54, v8 :: v_dual_mov_b32 v61, v8
	v_dual_mov_b32 v56, v8 :: v_dual_mov_b32 v63, v8
	s_wait_alu 0xfffe
	s_cvt_u32_f32 s9, s9
	v_dual_mov_b32 v58, v8 :: v_dual_mov_b32 v73, v8
	v_dual_mov_b32 v60, v8 :: v_dual_mov_b32 v75, v8
	s_wait_alu 0xfffe
	s_mul_i32 s11, s11, s9
	v_dual_mov_b32 v62, v8 :: v_dual_mov_b32 v77, v8
	s_mul_hi_u32 s10, s9, s11
	s_abs_i32 s11, s4
	s_add_co_i32 s9, s9, s10
	s_xor_b32 s10, s4, s3
	s_wait_alu 0xfffe
	s_mul_hi_u32 s9, s11, s9
	s_ashr_i32 s10, s10, 31
	s_wait_alu 0xfffe
	s_mul_i32 s12, s9, s8
	v_dual_mov_b32 v72, v8 :: v_dual_mov_b32 v79, v8
	s_sub_co_i32 s11, s11, s12
	s_add_co_i32 s12, s9, 1
	s_sub_co_i32 s14, s11, s8
	s_cmp_ge_u32 s11, s8
	v_dual_mov_b32 v74, v8 :: v_dual_mov_b32 v65, v8
	s_cselect_b32 s9, s12, s9
	s_cselect_b32 s11, s14, s11
	s_wait_alu 0xfffe
	s_add_co_i32 s12, s9, 1
	s_cmp_ge_u32 s11, s8
	v_dual_mov_b32 v76, v8 :: v_dual_mov_b32 v67, v8
	s_cselect_b32 s8, s12, s9
	s_lshr_b32 s9, s2, 29
	s_wait_alu 0xfffe
	s_xor_b32 s8, s8, s10
	s_add_co_i32 s9, s2, s9
	s_wait_alu 0xfffe
	s_sub_co_i32 s8, s8, s10
	s_and_b32 s9, s9, -8
	s_wait_alu 0xfffe
	s_mul_i32 s12, s8, s3
	s_sub_co_i32 s2, s2, s9
	s_cmp_ge_i32 s8, s9
	v_dual_mov_b32 v78, v8 :: v_dual_mov_b32 v69, v8
	s_cselect_b32 s2, s2, 8
	s_ashr_i32 s11, s8, 31
	s_abs_i32 s9, s2
	s_lshr_b32 s11, s11, 29
	s_wait_alu 0xfffe
	s_cvt_f32_u32 s10, s9
	s_add_co_i32 s11, s8, s11
	s_sub_co_i32 s4, s4, s12
	s_and_b32 s28, s11, -8
	v_rcp_iflag_f32_e32 v1, s10
	s_sub_co_i32 s8, s8, s28
	s_sub_co_i32 s11, 0, s9
	s_wait_alu 0xfffe
	s_mul_i32 s3, s8, s3
	v_dual_mov_b32 v64, v8 :: v_dual_mov_b32 v71, v8
	s_add_co_i32 s12, s3, s4
	v_dual_mov_b32 v66, v8 :: v_dual_mov_b32 v81, v8
	s_abs_i32 s4, s12
	s_delay_alu instid0(TRANS32_DEP_1)
	v_readfirstlane_b32 s10, v1
	s_xor_b32 s8, s12, s2
	v_dual_mov_b32 v68, v8 :: v_dual_mov_b32 v83, v8
	s_wait_alu 0xfffe
	s_ashr_i32 s14, s8, 31
	s_mul_f32 s10, s10, 0x4f7ffffe
	v_dual_mov_b32 v70, v8 :: v_dual_mov_b32 v85, v8
	v_dual_mov_b32 v80, v8 :: v_dual_mov_b32 v87, v8
	s_wait_alu 0xfffe
	s_cvt_u32_f32 s10, s10
	v_dual_mov_b32 v82, v8 :: v_dual_mov_b32 v89, v8
	s_load_b32 s6, s[0:1], 0x34
	s_delay_alu instid0(SALU_CYCLE_1)
	s_mul_i32 s11, s11, s10
	v_dual_mov_b32 v84, v8 :: v_dual_mov_b32 v91, v8
	s_wait_alu 0xfffe
	s_mul_hi_u32 s3, s10, s11
	v_dual_mov_b32 v86, v8 :: v_dual_mov_b32 v93, v8
	s_add_co_i32 s10, s10, s3
	v_dual_mov_b32 v88, v8 :: v_dual_mov_b32 v95, v8
	s_wait_alu 0xfffe
	s_mul_hi_u32 s3, s4, s10
	v_dual_mov_b32 v90, v8 :: v_dual_mov_b32 v105, v8
	s_mul_i32 s10, s3, s9
	s_add_co_i32 s8, s3, 1
	s_wait_alu 0xfffe
	s_sub_co_i32 s4, s4, s10
	v_dual_mov_b32 v92, v8 :: v_dual_mov_b32 v107, v8
	s_sub_co_i32 s10, s4, s9
	s_cmp_ge_u32 s4, s9
	v_mov_b32_e32 v10, v8
	s_cselect_b32 s8, s8, s3
	s_wait_alu 0xfffe
	s_cselect_b32 s3, s10, s4
	s_add_co_i32 s4, s8, 1
	s_cmp_ge_u32 s3, s9
	v_mov_b32_e32 v15, v8
	s_cselect_b32 s4, s4, s8
	s_load_b128 s[8:11], s[0:1], 0x48
	s_xor_b32 s4, s4, s14
	s_mov_b32 s3, 0x31004000
	s_sub_co_i32 s4, s4, s14
	s_mov_b32 s15, s3
	v_lshl_or_b32 v1, s4, 7, v128
	s_mul_i32 s2, s4, s2
	v_mov_b32_e32 v12, v8
	s_sub_co_i32 s2, s12, s2
	s_mov_b32 s12, s17
	v_mul_lo_u32 v135, v1, s20
	s_add_co_i32 s28, s28, s2
	s_mul_u64 s[12:13], s[12:13], s[16:17]
	v_lshl_or_b32 v142, s28, 8, v129
	s_add_nc_u64 s[24:25], s[12:13], s[26:27]
	v_mov_b32_e32 v14, v8
	s_mov_b32 s14, s25
	s_add_nc_u64 s[26:27], s[30:31], s[26:27]
	v_add_nc_u32_e32 v1, v135, v136
	v_mul_lo_u32 v143, v142, s7
	s_wait_kmcnt 0x0
	s_mov_b32 s12, s10
	s_and_b32 s13, s11, 0xffff
	s_mov_b32 s19, s3
	v_add_nc_u32_e32 v2, s20, v1
	s_mov_b32 s16, s8
	s_mov_b32 s18, s27
	s_and_b32 s17, s9, 0xffff
	v_add_nc_u32_e32 v3, v143, v136
	v_add_nc_u32_e32 v4, 8, v2
	v_lshlrev_b32_e32 v129, 4, v129
	v_dual_mov_b32 v17, v8 :: v_dual_lshlrev_b32 v128, 4, v128
	s_delay_alu instid0(VALU_DEP_4)
	v_add_nc_u32_e32 v5, s7, v3
	buffer_load_b64 v[164:165], v4, s[12:15], null offen
	v_add_nc_u32_e32 v140, v138, v129
	v_mad_u32_u24 v172, 0x810, v130, v128
	v_lshl_add_u32 v138, v141, 4, v169
	v_add_nc_u32_e32 v4, s7, v5
	v_add_nc_u32_e32 v141, v128, v168
	v_or_b32_e32 v128, 3, v142
	v_mad_u32_u24 v171, 0x1010, v130, v129
	v_or_b32_e32 v130, 2, v142
	v_add_nc_u32_e32 v6, s7, v4
	s_clause 0x3
	buffer_load_b128 v[144:147], v3, s[16:19], null offen
	buffer_load_b128 v[148:151], v5, s[16:19], null offen
	;; [unrolled: 1-line block ×4, first 2 shown]
	s_clause 0x1
	buffer_load_b128 v[160:163], v1, s[12:15], null offen
	buffer_load_b64 v[166:167], v2, s[12:15], null offen
	s_load_b64 s[14:15], s[0:1], 0x58
	s_ashr_i32 s1, s6, 31
	v_mad_co_u64_u32 v[128:129], null, s7, v128, 64
	v_mad_co_u64_u32 v[129:130], null, s7, v130, 64
	s_lshr_b32 s1, s1, 30
	v_add_nc_u32_e32 v130, 64, v143
	s_add_co_i32 s6, s6, s1
	v_mov_b32_e32 v1, v8
	s_wait_alu 0xfffe
	s_ashr_i32 s6, s6, 2
	v_dual_mov_b32 v2, v8 :: v_dual_mov_b32 v3, v8
	v_dual_mov_b32 v4, v8 :: v_dual_mov_b32 v19, v8
	;; [unrolled: 1-line block ×17, first 2 shown]
	v_dual_mov_b32 v127, v8 :: v_dual_add_nc_u32 v168, 0x4000, v172
	v_add_nc_u32_e32 v142, s20, v135
	v_add_nc_u32_e32 v143, s7, v130
	s_wait_alu 0xfffe
	s_max_i32 s6, s6, 2
	s_mov_b32 s11, s3
	s_mov_b32 s0, s8
	;; [unrolled: 1-line block ×7, first 2 shown]
	s_wait_alu 0xfffe
	s_add_co_i32 s6, s6, -1
	s_wait_loadcnt 0x5
	ds_store_b128 v171, v[144:147]
	s_wait_loadcnt 0x4
	ds_store_b128 v171, v[148:151] offset:16
	v_and_b32_e32 v169, 0xffff0000, v165
	v_and_b32_e32 v170, 0xff, v165
	;; [unrolled: 1-line block ×7, first 2 shown]
	v_add_nc_u32_e32 v144, 0x4000, v141
	v_or3_b32 v173, v137, v174, v173
	v_or3_b32 v165, v165, v169, v170
	s_wait_loadcnt 0x3
	ds_store_b128 v171, v[152:155] offset:32
	s_wait_loadcnt 0x2
	ds_store_b128 v171, v[156:159] offset:48
	;; [unrolled: 2-line block ×3, first 2 shown]
	v_or3_b32 v145, v173, v175, v164
	v_or3_b32 v146, v165, 0, 0
	s_wait_loadcnt 0x0
	ds_store_2addr_b64 v168, v[166:167], v[145:146] offset0:8 offset1:9
.LBB3_1:                                ; =>This Inner Loop Header: Depth=1
	v_add_nc_u32_e32 v145, v136, v130
	v_add_nc_u32_e32 v161, v136, v142
	;; [unrolled: 1-line block ×5, first 2 shown]
	s_clause 0x3
	buffer_load_b128 v[145:148], v145, s[0:3], null offen
	buffer_load_b128 v[149:152], v149, s[0:3], null offen
	;; [unrolled: 1-line block ×4, first 2 shown]
	s_wait_dscnt 0x0
	s_barrier_signal -1
	s_barrier_wait -1
	buffer_load_b128 v[161:164], v161, s[8:11], null offen offset:64
	v_add_nc_u32_e32 v165, v136, v135
	v_add_nc_u32_e32 v142, 64, v142
	;; [unrolled: 1-line block ×5, first 2 shown]
	buffer_load_b128 v[165:168], v165, s[8:11], null offen offset:64
	ds_load_b128 v[169:172], v138
	ds_load_b128 v[173:176], v139 offset:16432
	ds_load_b128 v[177:180], v139 offset:17456
	;; [unrolled: 1-line block ×4, first 2 shown]
	v_add_nc_u32_e32 v143, 64, v143
	v_add_nc_u32_e32 v130, 64, v130
	s_add_co_i32 s6, s6, -1
	s_wait_alu 0xfffe
	s_cmp_lg_u32 s6, 0
	s_wait_dscnt 0x3
	v_wmma_f32_16x16x16_fp8_bf8 v[120:127], v[169:170], v[173:174], v[120:127]
	s_wait_dscnt 0x2
	v_wmma_f32_16x16x16_fp8_bf8 v[112:119], v[169:170], v[177:178], v[112:119]
	;; [unrolled: 2-line block ×3, first 2 shown]
	v_wmma_f32_16x16x16_fp8_bf8 v[104:111], v[181:182], v[177:178], v[104:111]
	s_wait_dscnt 0x0
	v_wmma_f32_16x16x16_fp8_bf8 v[88:95], v[185:186], v[173:174], v[88:95]
	v_wmma_f32_16x16x16_fp8_bf8 v[120:127], v[171:172], v[175:176], v[120:127]
	;; [unrolled: 1-line block ×3, first 2 shown]
	ds_load_b128 v[169:172], v138 offset:1536
	v_wmma_f32_16x16x16_fp8_bf8 v[96:103], v[183:184], v[175:176], v[96:103]
	v_wmma_f32_16x16x16_fp8_bf8 v[104:111], v[183:184], v[179:180], v[104:111]
	ds_load_b128 v[181:184], v138 offset:2048
	v_wmma_f32_16x16x16_fp8_bf8 v[80:87], v[185:186], v[177:178], v[80:87]
	v_wmma_f32_16x16x16_fp8_bf8 v[88:95], v[187:188], v[175:176], v[88:95]
	s_delay_alu instid0(VALU_DEP_2)
	v_wmma_f32_16x16x16_fp8_bf8 v[80:87], v[187:188], v[179:180], v[80:87]
	ds_load_b128 v[185:188], v138 offset:2560
	s_wait_dscnt 0x2
	v_wmma_f32_16x16x16_fp8_bf8 v[64:71], v[169:170], v[173:174], v[64:71]
	v_wmma_f32_16x16x16_fp8_bf8 v[72:79], v[169:170], v[177:178], v[72:79]
	s_wait_dscnt 0x1
	v_wmma_f32_16x16x16_fp8_bf8 v[56:63], v[181:182], v[173:174], v[56:63]
	v_wmma_f32_16x16x16_fp8_bf8 v[48:55], v[181:182], v[177:178], v[48:55]
	;; [unrolled: 1-line block ×4, first 2 shown]
	ds_load_b128 v[169:172], v138 offset:3072
	v_wmma_f32_16x16x16_fp8_bf8 v[56:63], v[183:184], v[175:176], v[56:63]
	v_wmma_f32_16x16x16_fp8_bf8 v[48:55], v[183:184], v[179:180], v[48:55]
	ds_load_b128 v[181:184], v138 offset:3584
	s_wait_dscnt 0x2
	v_wmma_f32_16x16x16_fp8_bf8 v[32:39], v[185:186], v[173:174], v[32:39]
	v_wmma_f32_16x16x16_fp8_bf8 v[40:47], v[185:186], v[177:178], v[40:47]
	s_delay_alu instid0(VALU_DEP_2) | instskip(NEXT) | instid1(VALU_DEP_2)
	v_wmma_f32_16x16x16_fp8_bf8 v[32:39], v[187:188], v[175:176], v[32:39]
	v_wmma_f32_16x16x16_fp8_bf8 v[40:47], v[187:188], v[179:180], v[40:47]
	ds_load_b128 v[185:188], v138 offset:4112
	s_wait_dscnt 0x2
	v_wmma_f32_16x16x16_fp8_bf8 v[24:31], v[169:170], v[173:174], v[24:31]
	v_wmma_f32_16x16x16_fp8_bf8 v[16:23], v[169:170], v[177:178], v[16:23]
	s_wait_dscnt 0x1
	v_wmma_f32_16x16x16_fp8_bf8 v[0:7], v[181:182], v[173:174], v[0:7]
	v_wmma_f32_16x16x16_fp8_bf8 v[8:15], v[181:182], v[177:178], v[8:15]
	;; [unrolled: 1-line block ×4, first 2 shown]
	ds_load_b128 v[169:172], v139 offset:18496
	v_wmma_f32_16x16x16_fp8_bf8 v[0:7], v[183:184], v[175:176], v[0:7]
	ds_load_b128 v[173:176], v139 offset:19520
	v_wmma_f32_16x16x16_fp8_bf8 v[8:15], v[183:184], v[179:180], v[8:15]
	ds_load_b128 v[177:180], v138 offset:4624
	ds_load_b128 v[181:184], v138 offset:5136
	s_wait_dscnt 0x3
	v_wmma_f32_16x16x16_fp8_bf8 v[120:127], v[185:186], v[169:170], v[120:127]
	s_wait_dscnt 0x2
	v_wmma_f32_16x16x16_fp8_bf8 v[112:119], v[185:186], v[173:174], v[112:119]
	;; [unrolled: 2-line block ×3, first 2 shown]
	v_wmma_f32_16x16x16_fp8_bf8 v[104:111], v[177:178], v[173:174], v[104:111]
	v_wmma_f32_16x16x16_fp8_bf8 v[120:127], v[187:188], v[171:172], v[120:127]
	s_wait_dscnt 0x0
	v_wmma_f32_16x16x16_fp8_bf8 v[88:95], v[181:182], v[169:170], v[88:95]
	v_wmma_f32_16x16x16_fp8_bf8 v[112:119], v[187:188], v[175:176], v[112:119]
	ds_load_b128 v[185:188], v138 offset:5648
	v_wmma_f32_16x16x16_fp8_bf8 v[96:103], v[179:180], v[171:172], v[96:103]
	v_wmma_f32_16x16x16_fp8_bf8 v[104:111], v[179:180], v[175:176], v[104:111]
	ds_load_b128 v[177:180], v138 offset:6160
	v_wmma_f32_16x16x16_fp8_bf8 v[80:87], v[181:182], v[173:174], v[80:87]
	v_wmma_f32_16x16x16_fp8_bf8 v[88:95], v[183:184], v[171:172], v[88:95]
	s_delay_alu instid0(VALU_DEP_2)
	v_wmma_f32_16x16x16_fp8_bf8 v[80:87], v[183:184], v[175:176], v[80:87]
	ds_load_b128 v[181:184], v138 offset:6672
	s_wait_dscnt 0x2
	v_wmma_f32_16x16x16_fp8_bf8 v[64:71], v[185:186], v[169:170], v[64:71]
	v_wmma_f32_16x16x16_fp8_bf8 v[72:79], v[185:186], v[173:174], v[72:79]
	s_wait_dscnt 0x1
	v_wmma_f32_16x16x16_fp8_bf8 v[56:63], v[177:178], v[169:170], v[56:63]
	v_wmma_f32_16x16x16_fp8_bf8 v[48:55], v[177:178], v[173:174], v[48:55]
	;; [unrolled: 1-line block ×4, first 2 shown]
	ds_load_b128 v[185:188], v138 offset:7184
	v_wmma_f32_16x16x16_fp8_bf8 v[56:63], v[179:180], v[171:172], v[56:63]
	v_wmma_f32_16x16x16_fp8_bf8 v[48:55], v[179:180], v[175:176], v[48:55]
	ds_load_b128 v[177:180], v138 offset:7696
	s_wait_dscnt 0x2
	v_wmma_f32_16x16x16_fp8_bf8 v[32:39], v[181:182], v[169:170], v[32:39]
	v_wmma_f32_16x16x16_fp8_bf8 v[40:47], v[181:182], v[173:174], v[40:47]
	s_wait_dscnt 0x0
	s_barrier_signal -1
	s_barrier_wait -1
	v_wmma_f32_16x16x16_fp8_bf8 v[32:39], v[183:184], v[171:172], v[32:39]
	v_wmma_f32_16x16x16_fp8_bf8 v[40:47], v[183:184], v[175:176], v[40:47]
	;; [unrolled: 1-line block ×6, first 2 shown]
	s_delay_alu instid0(VALU_DEP_4) | instskip(NEXT) | instid1(VALU_DEP_4)
	v_wmma_f32_16x16x16_fp8_bf8 v[24:31], v[187:188], v[171:172], v[24:31]
	v_wmma_f32_16x16x16_fp8_bf8 v[16:23], v[187:188], v[175:176], v[16:23]
	s_delay_alu instid0(VALU_DEP_4) | instskip(NEXT) | instid1(VALU_DEP_4)
	v_wmma_f32_16x16x16_fp8_bf8 v[0:7], v[179:180], v[171:172], v[0:7]
	v_wmma_f32_16x16x16_fp8_bf8 v[8:15], v[179:180], v[175:176], v[8:15]
	s_wait_loadcnt 0x5
	ds_store_b128 v140, v[145:148]
	s_wait_loadcnt 0x1
	v_and_b32_e32 v169, 0xff0000, v163
	v_and_b32_e32 v170, 0xff000000, v163
	;; [unrolled: 1-line block ×5, first 2 shown]
	s_delay_alu instid0(VALU_DEP_4) | instskip(SKIP_1) | instid1(VALU_DEP_3)
	v_or3_b32 v169, v137, v170, v169
	v_and_b32_e32 v170, 0xff, v163
	v_or3_b32 v164, v164, v173, v174
	s_delay_alu instid0(VALU_DEP_3) | instskip(NEXT) | instid1(VALU_DEP_2)
	v_and_or_b32 v163, 0xff00, v163, v169
	v_or3_b32 v146, v164, 0, 0
	s_delay_alu instid0(VALU_DEP_2)
	v_or_b32_e32 v145, v163, v170
	ds_store_b128 v140, v[149:152] offset:16
	ds_store_b128 v140, v[153:156] offset:32
	;; [unrolled: 1-line block ×3, first 2 shown]
	s_wait_loadcnt 0x0
	ds_store_b128 v141, v[165:168] offset:16432
	ds_store_2addr_b64 v144, v[161:162], v[145:146] offset0:8 offset1:9
	s_cbranch_scc1 .LBB3_1
; %bb.2:
	s_wait_dscnt 0x0
	s_barrier_signal -1
	s_barrier_wait -1
	ds_load_b128 v[140:143], v138
	ds_load_b128 v[144:147], v138 offset:4112
	ds_load_b128 v[148:151], v139 offset:16432
	;; [unrolled: 1-line block ×5, first 2 shown]
	v_and_b32_e32 v128, 8, v131
	v_and_b32_e32 v134, 56, v134
	v_lshl_or_b32 v129, s28, 8, v132
	s_mov_b32 s1, 0
	s_mov_b32 s0, s21
	;; [unrolled: 1-line block ×3, first 2 shown]
	s_mul_u64 s[0:1], s[22:23], s[0:1]
	s_delay_alu instid0(SALU_CYCLE_1)
	s_add_co_i32 s0, s5, s1
	s_wait_kmcnt 0x0
	s_and_b32 s1, s15, 0xffff
	s_lshl_b32 s2, s0, 1
	s_mov_b32 s0, s14
	s_wait_dscnt 0x3
	v_wmma_f32_16x16x16_fp8_bf8 v[120:127], v[140:141], v[148:149], v[120:127]
	s_wait_dscnt 0x1
	v_wmma_f32_16x16x16_fp8_bf8 v[112:119], v[140:141], v[156:157], v[112:119]
	s_delay_alu instid0(VALU_DEP_2) | instskip(NEXT) | instid1(VALU_DEP_2)
	v_wmma_f32_16x16x16_fp8_bf8 v[120:127], v[142:143], v[150:151], v[120:127]
	v_wmma_f32_16x16x16_fp8_bf8 v[112:119], v[142:143], v[158:159], v[112:119]
	s_delay_alu instid0(VALU_DEP_2) | instskip(SKIP_1) | instid1(VALU_DEP_2)
	v_wmma_f32_16x16x16_fp8_bf8 v[120:127], v[144:145], v[152:153], v[120:127]
	s_wait_dscnt 0x0
	v_wmma_f32_16x16x16_fp8_bf8 v[112:119], v[144:145], v[160:161], v[112:119]
	s_delay_alu instid0(VALU_DEP_2) | instskip(NEXT) | instid1(VALU_DEP_2)
	v_wmma_f32_16x16x16_fp8_bf8 v[120:127], v[146:147], v[154:155], v[120:127]
	v_wmma_f32_16x16x16_fp8_bf8 v[112:119], v[146:147], v[162:163], v[112:119]
	ds_load_b128 v[139:142], v138 offset:512
	ds_load_b128 v[143:146], v138 offset:4624
	s_wait_dscnt 0x1
	v_wmma_f32_16x16x16_fp8_bf8 v[96:103], v[139:140], v[148:149], v[96:103]
	v_wmma_f32_16x16x16_fp8_bf8 v[104:111], v[139:140], v[156:157], v[104:111]
	s_delay_alu instid0(VALU_DEP_2) | instskip(NEXT) | instid1(VALU_DEP_2)
	v_wmma_f32_16x16x16_fp8_bf8 v[96:103], v[141:142], v[150:151], v[96:103]
	v_wmma_f32_16x16x16_fp8_bf8 v[104:111], v[141:142], v[158:159], v[104:111]
	s_wait_dscnt 0x0
	s_delay_alu instid0(VALU_DEP_2) | instskip(NEXT) | instid1(VALU_DEP_2)
	v_wmma_f32_16x16x16_fp8_bf8 v[96:103], v[143:144], v[152:153], v[96:103]
	v_wmma_f32_16x16x16_fp8_bf8 v[104:111], v[143:144], v[160:161], v[104:111]
	s_delay_alu instid0(VALU_DEP_2) | instskip(NEXT) | instid1(VALU_DEP_2)
	v_wmma_f32_16x16x16_fp8_bf8 v[96:103], v[145:146], v[154:155], v[96:103]
	v_wmma_f32_16x16x16_fp8_bf8 v[104:111], v[145:146], v[162:163], v[104:111]
	ds_load_b128 v[139:142], v138 offset:1024
	ds_load_b128 v[143:146], v138 offset:5136
	s_wait_dscnt 0x1
	v_wmma_f32_16x16x16_fp8_bf8 v[88:95], v[139:140], v[148:149], v[88:95]
	v_wmma_f32_16x16x16_fp8_bf8 v[80:87], v[139:140], v[156:157], v[80:87]
	s_delay_alu instid0(VALU_DEP_2) | instskip(NEXT) | instid1(VALU_DEP_2)
	v_wmma_f32_16x16x16_fp8_bf8 v[88:95], v[141:142], v[150:151], v[88:95]
	v_wmma_f32_16x16x16_fp8_bf8 v[80:87], v[141:142], v[158:159], v[80:87]
	s_wait_dscnt 0x0
	s_delay_alu instid0(VALU_DEP_2) | instskip(NEXT) | instid1(VALU_DEP_2)
	v_wmma_f32_16x16x16_fp8_bf8 v[88:95], v[143:144], v[152:153], v[88:95]
	;; [unrolled: 15-line block ×5, first 2 shown]
	v_wmma_f32_16x16x16_fp8_bf8 v[40:47], v[143:144], v[160:161], v[40:47]
	s_delay_alu instid0(VALU_DEP_2) | instskip(NEXT) | instid1(VALU_DEP_2)
	v_wmma_f32_16x16x16_fp8_bf8 v[32:39], v[145:146], v[154:155], v[32:39]
	v_wmma_f32_16x16x16_fp8_bf8 v[40:47], v[145:146], v[162:163], v[40:47]
	ds_load_b128 v[139:142], v138 offset:3072
	ds_load_b128 v[143:146], v138 offset:7184
	s_wait_dscnt 0x1
	v_wmma_f32_16x16x16_fp8_bf8 v[24:31], v[139:140], v[148:149], v[24:31]
	v_wmma_f32_16x16x16_fp8_bf8 v[16:23], v[139:140], v[156:157], v[16:23]
	s_delay_alu instid0(VALU_DEP_2) | instskip(NEXT) | instid1(VALU_DEP_2)
	v_wmma_f32_16x16x16_fp8_bf8 v[24:31], v[141:142], v[150:151], v[24:31]
	v_wmma_f32_16x16x16_fp8_bf8 v[16:23], v[141:142], v[158:159], v[16:23]
	ds_load_b128 v[139:142], v138 offset:3584
	ds_load_b128 v[135:138], v138 offset:7696
	s_wait_dscnt 0x0
	s_barrier_signal -1
	s_barrier_wait -1
	v_wmma_f32_16x16x16_fp8_bf8 v[24:31], v[143:144], v[152:153], v[24:31]
	v_wmma_f32_16x16x16_fp8_bf8 v[16:23], v[143:144], v[160:161], v[16:23]
	s_delay_alu instid0(VALU_DEP_2) | instskip(NEXT) | instid1(VALU_DEP_2)
	v_wmma_f32_16x16x16_fp8_bf8 v[24:31], v[145:146], v[154:155], v[24:31]
	v_wmma_f32_16x16x16_fp8_bf8 v[16:23], v[145:146], v[162:163], v[16:23]
	;; [unrolled: 1-line block ×4, first 2 shown]
	s_delay_alu instid0(VALU_DEP_2) | instskip(NEXT) | instid1(VALU_DEP_2)
	v_wmma_f32_16x16x16_fp8_bf8 v[0:7], v[141:142], v[150:151], v[0:7]
	v_wmma_f32_16x16x16_fp8_bf8 v[8:15], v[141:142], v[158:159], v[8:15]
	s_delay_alu instid0(VALU_DEP_2) | instskip(NEXT) | instid1(VALU_DEP_2)
	v_wmma_f32_16x16x16_fp8_bf8 v[0:7], v[135:136], v[152:153], v[0:7]
	v_wmma_f32_16x16x16_fp8_bf8 v[8:15], v[135:136], v[160:161], v[8:15]
	v_and_b32_e32 v135, 48, v131
	v_and_or_b32 v131, v132, 16, v128
	v_lshl_or_b32 v128, s4, 7, v134
	s_lshl_b32 s4, s21, 5
	v_wmma_f32_16x16x16_fp8_bf8 v[8:15], v[137:138], v[162:163], v[8:15]
	v_wmma_f32_16x16x16_fp8_bf8 v[0:7], v[137:138], v[154:155], v[0:7]
	s_delay_alu instid0(VALU_DEP_3) | instskip(SKIP_3) | instid1(VALU_DEP_1)
	v_mad_co_u64_u32 v[129:130], null, v129, s21, v[128:129]
	v_lshlrev_b32_e32 v128, 2, v135
	v_lshlrev_b32_e32 v130, 8, v131
	;; [unrolled: 1-line block ×3, first 2 shown]
	v_or3_b32 v128, v128, v130, v131
	ds_store_2addr_stride64_b32 v128, v120, v121 offset1:1
	ds_store_2addr_stride64_b32 v128, v122, v123 offset0:2 offset1:3
	ds_store_2addr_stride64_b32 v128, v124, v125 offset0:4 offset1:5
	;; [unrolled: 1-line block ×3, first 2 shown]
	v_lshlrev_b32_e32 v120, 2, v134
	s_wait_dscnt 0x0
	s_barrier_signal -1
	s_barrier_wait -1
	v_lshlrev_b32_e32 v127, 1, v129
	v_lshl_or_b32 v120, v132, 8, v120
	ds_load_b128 v[121:124], v120
	s_wait_dscnt 0x0
	v_cvt_f16_f32_e32 v121, v121
	v_cvt_f16_f32_e32 v125, v122
	;; [unrolled: 1-line block ×4, first 2 shown]
	s_delay_alu instid0(VALU_DEP_3) | instskip(NEXT) | instid1(VALU_DEP_2)
	v_pack_b32_f16 v121, v121, v125
	v_pack_b32_f16 v122, v122, v123
	ds_load_b128 v[123:126], v120 offset:16
	s_wait_dscnt 0x0
	v_cvt_f16_f32_e32 v123, v123
	v_cvt_f16_f32_e64 v130, v124
	v_cvt_f16_f32_e32 v124, v125
	v_cvt_f16_f32_e32 v125, v126
	s_delay_alu instid0(VALU_DEP_3) | instskip(NEXT) | instid1(VALU_DEP_2)
	v_pack_b32_f16 v123, v123, v130
	v_pack_b32_f16 v124, v124, v125
	buffer_store_b128 v[121:124], v127, s[0:3], null offen
	s_wait_dscnt 0x0
	s_barrier_signal -1
	s_barrier_wait -1
	ds_store_2addr_stride64_b32 v128, v112, v113 offset1:1
	ds_store_2addr_stride64_b32 v128, v114, v115 offset0:2 offset1:3
	ds_store_2addr_stride64_b32 v128, v116, v117 offset0:4 offset1:5
	;; [unrolled: 1-line block ×3, first 2 shown]
	s_wait_dscnt 0x0
	s_barrier_signal -1
	s_barrier_wait -1
	ds_load_b128 v[112:115], v120
	v_add_nc_u32_e32 v121, 64, v129
	s_wait_dscnt 0x0
	v_cvt_f16_f32_e32 v112, v112
	v_cvt_f16_f32_e32 v116, v113
	;; [unrolled: 1-line block ×4, first 2 shown]
	s_delay_alu instid0(VALU_DEP_3) | instskip(NEXT) | instid1(VALU_DEP_2)
	v_pack_b32_f16 v112, v112, v116
	v_pack_b32_f16 v113, v113, v114
	v_lshlrev_b32_e32 v114, 1, v121
	buffer_store_b64 v[112:113], v114, s[0:3], null offen
	ds_load_b128 v[112:115], v120 offset:16
	s_wait_dscnt 0x0
	v_cvt_f16_f32_e32 v112, v112
	v_cvt_f16_f32_e32 v116, v113
	;; [unrolled: 1-line block ×4, first 2 shown]
	s_delay_alu instid0(VALU_DEP_3) | instskip(NEXT) | instid1(VALU_DEP_2)
	v_pack_b32_f16 v112, v112, v116
	v_pack_b32_f16 v113, v113, v114
	buffer_store_b64 v[112:113], v127, s[0:3], null offen offset:136
	s_wait_dscnt 0x0
	s_barrier_signal -1
	s_barrier_wait -1
	ds_store_2addr_stride64_b32 v128, v104, v105 offset1:1
	ds_store_2addr_stride64_b32 v128, v106, v107 offset0:2 offset1:3
	ds_store_2addr_stride64_b32 v128, v108, v109 offset0:4 offset1:5
	;; [unrolled: 1-line block ×3, first 2 shown]
	s_wait_dscnt 0x0
	s_barrier_signal -1
	s_barrier_wait -1
	ds_load_b128 v[104:107], v120
	v_add_lshl_u32 v110, v121, s4, 1
	s_wait_dscnt 0x0
	v_cvt_f16_f32_e32 v104, v104
	v_cvt_f16_f32_e32 v108, v105
	;; [unrolled: 1-line block ×4, first 2 shown]
	s_delay_alu instid0(VALU_DEP_3) | instskip(NEXT) | instid1(VALU_DEP_2)
	v_pack_b32_f16 v104, v104, v108
	v_pack_b32_f16 v105, v105, v106
	ds_load_b128 v[106:109], v120 offset:16
	s_wait_dscnt 0x0
	v_cvt_f16_f32_e32 v106, v106
	v_cvt_f16_f32_e32 v111, v107
	;; [unrolled: 1-line block ×4, first 2 shown]
	s_delay_alu instid0(VALU_DEP_3) | instskip(NEXT) | instid1(VALU_DEP_2)
	v_pack_b32_f16 v106, v106, v111
	v_pack_b32_f16 v107, v107, v108
	buffer_store_b128 v[104:107], v110, s[0:3], null offen
	s_wait_dscnt 0x0
	s_barrier_signal -1
	s_barrier_wait -1
	ds_store_2addr_stride64_b32 v128, v96, v97 offset1:1
	ds_store_2addr_stride64_b32 v128, v98, v99 offset0:2 offset1:3
	ds_store_2addr_stride64_b32 v128, v100, v101 offset0:4 offset1:5
	;; [unrolled: 1-line block ×3, first 2 shown]
	s_wait_dscnt 0x0
	s_barrier_signal -1
	s_barrier_wait -1
	ds_load_b128 v[96:99], v120
	v_add_nc_u32_e32 v104, s4, v129
	s_delay_alu instid0(VALU_DEP_1)
	v_lshlrev_b32_e32 v102, 1, v104
	s_wait_dscnt 0x0
	v_cvt_f16_f32_e32 v96, v96
	v_cvt_f16_f32_e32 v100, v97
	;; [unrolled: 1-line block ×4, first 2 shown]
	s_delay_alu instid0(VALU_DEP_3) | instskip(NEXT) | instid1(VALU_DEP_2)
	v_pack_b32_f16 v96, v96, v100
	v_pack_b32_f16 v97, v97, v98
	ds_load_b128 v[98:101], v120 offset:16
	s_wait_dscnt 0x0
	v_cvt_f16_f32_e32 v98, v98
	v_cvt_f16_f32_e32 v103, v99
	;; [unrolled: 1-line block ×4, first 2 shown]
	s_delay_alu instid0(VALU_DEP_3) | instskip(NEXT) | instid1(VALU_DEP_2)
	v_pack_b32_f16 v98, v98, v103
	v_pack_b32_f16 v99, v99, v100
	buffer_store_b128 v[96:99], v102, s[0:3], null offen
	s_wait_dscnt 0x0
	s_barrier_signal -1
	s_barrier_wait -1
	ds_store_2addr_stride64_b32 v128, v88, v89 offset1:1
	ds_store_2addr_stride64_b32 v128, v90, v91 offset0:2 offset1:3
	ds_store_2addr_stride64_b32 v128, v92, v93 offset0:4 offset1:5
	;; [unrolled: 1-line block ×3, first 2 shown]
	s_wait_dscnt 0x0
	s_barrier_signal -1
	s_barrier_wait -1
	ds_load_b128 v[88:91], v120
	v_add_nc_u32_e32 v96, s4, v104
	s_delay_alu instid0(VALU_DEP_1)
	v_lshlrev_b32_e32 v94, 1, v96
	s_wait_dscnt 0x0
	v_cvt_f16_f32_e32 v88, v88
	v_cvt_f16_f32_e32 v92, v89
	v_cvt_f16_f32_e32 v89, v90
	v_cvt_f16_f32_e32 v90, v91
	s_delay_alu instid0(VALU_DEP_3) | instskip(NEXT) | instid1(VALU_DEP_2)
	v_pack_b32_f16 v88, v88, v92
	v_pack_b32_f16 v89, v89, v90
	ds_load_b128 v[90:93], v120 offset:16
	s_wait_dscnt 0x0
	v_cvt_f16_f32_e32 v90, v90
	v_cvt_f16_f32_e32 v95, v91
	;; [unrolled: 1-line block ×4, first 2 shown]
	s_delay_alu instid0(VALU_DEP_3) | instskip(NEXT) | instid1(VALU_DEP_2)
	v_pack_b32_f16 v90, v90, v95
	v_pack_b32_f16 v91, v91, v92
	buffer_store_b128 v[88:91], v94, s[0:3], null offen
	s_wait_dscnt 0x0
	s_barrier_signal -1
	s_barrier_wait -1
	ds_store_2addr_stride64_b32 v128, v80, v81 offset1:1
	ds_store_2addr_stride64_b32 v128, v82, v83 offset0:2 offset1:3
	ds_store_2addr_stride64_b32 v128, v84, v85 offset0:4 offset1:5
	;; [unrolled: 1-line block ×3, first 2 shown]
	s_wait_dscnt 0x0
	s_barrier_signal -1
	s_barrier_wait -1
	ds_load_b128 v[80:83], v120
	v_add_nc_u32_e32 v88, 64, v96
	s_wait_dscnt 0x0
	v_cvt_f16_f32_e32 v80, v80
	v_cvt_f16_f32_e32 v84, v81
	;; [unrolled: 1-line block ×4, first 2 shown]
	s_delay_alu instid0(VALU_DEP_3) | instskip(NEXT) | instid1(VALU_DEP_2)
	v_pack_b32_f16 v80, v80, v84
	v_pack_b32_f16 v81, v81, v82
	v_lshlrev_b32_e32 v82, 1, v88
	buffer_store_b64 v[80:81], v82, s[0:3], null offen
	ds_load_b128 v[80:83], v120 offset:16
	s_wait_dscnt 0x0
	v_cvt_f16_f32_e32 v80, v80
	v_cvt_f16_f32_e32 v84, v81
	;; [unrolled: 1-line block ×4, first 2 shown]
	s_delay_alu instid0(VALU_DEP_3) | instskip(NEXT) | instid1(VALU_DEP_2)
	v_pack_b32_f16 v80, v80, v84
	v_pack_b32_f16 v81, v81, v82
	buffer_store_b64 v[80:81], v94, s[0:3], null offen offset:136
	s_wait_dscnt 0x0
	s_barrier_signal -1
	s_barrier_wait -1
	ds_store_2addr_stride64_b32 v128, v72, v73 offset1:1
	ds_store_2addr_stride64_b32 v128, v74, v75 offset0:2 offset1:3
	ds_store_2addr_stride64_b32 v128, v76, v77 offset0:4 offset1:5
	;; [unrolled: 1-line block ×3, first 2 shown]
	s_wait_dscnt 0x0
	s_barrier_signal -1
	s_barrier_wait -1
	ds_load_b128 v[72:75], v120
	v_add_lshl_u32 v78, v88, s4, 1
	s_wait_dscnt 0x0
	v_cvt_f16_f32_e32 v72, v72
	v_cvt_f16_f32_e32 v76, v73
	;; [unrolled: 1-line block ×4, first 2 shown]
	s_delay_alu instid0(VALU_DEP_3) | instskip(NEXT) | instid1(VALU_DEP_2)
	v_pack_b32_f16 v72, v72, v76
	v_pack_b32_f16 v73, v73, v74
	ds_load_b128 v[74:77], v120 offset:16
	s_wait_dscnt 0x0
	v_cvt_f16_f32_e32 v74, v74
	v_cvt_f16_f32_e32 v79, v75
	;; [unrolled: 1-line block ×4, first 2 shown]
	s_delay_alu instid0(VALU_DEP_3) | instskip(NEXT) | instid1(VALU_DEP_2)
	v_pack_b32_f16 v74, v74, v79
	v_pack_b32_f16 v75, v75, v76
	buffer_store_b128 v[72:75], v78, s[0:3], null offen
	s_wait_dscnt 0x0
	s_barrier_signal -1
	s_barrier_wait -1
	ds_store_2addr_stride64_b32 v128, v64, v65 offset1:1
	ds_store_2addr_stride64_b32 v128, v66, v67 offset0:2 offset1:3
	ds_store_2addr_stride64_b32 v128, v68, v69 offset0:4 offset1:5
	;; [unrolled: 1-line block ×3, first 2 shown]
	s_wait_dscnt 0x0
	s_barrier_signal -1
	s_barrier_wait -1
	ds_load_b128 v[64:67], v120
	v_add_nc_u32_e32 v72, s4, v96
	s_delay_alu instid0(VALU_DEP_1)
	v_lshlrev_b32_e32 v70, 1, v72
	s_wait_dscnt 0x0
	v_cvt_f16_f32_e32 v64, v64
	v_cvt_f16_f32_e32 v68, v65
	;; [unrolled: 1-line block ×4, first 2 shown]
	s_delay_alu instid0(VALU_DEP_3) | instskip(NEXT) | instid1(VALU_DEP_2)
	v_pack_b32_f16 v64, v64, v68
	v_pack_b32_f16 v65, v65, v66
	ds_load_b128 v[66:69], v120 offset:16
	s_wait_dscnt 0x0
	v_cvt_f16_f32_e32 v66, v66
	v_cvt_f16_f32_e32 v71, v67
	;; [unrolled: 1-line block ×4, first 2 shown]
	s_delay_alu instid0(VALU_DEP_3) | instskip(NEXT) | instid1(VALU_DEP_2)
	v_pack_b32_f16 v66, v66, v71
	v_pack_b32_f16 v67, v67, v68
	buffer_store_b128 v[64:67], v70, s[0:3], null offen
	s_wait_dscnt 0x0
	s_barrier_signal -1
	s_barrier_wait -1
	ds_store_2addr_stride64_b32 v128, v56, v57 offset1:1
	ds_store_2addr_stride64_b32 v128, v58, v59 offset0:2 offset1:3
	ds_store_2addr_stride64_b32 v128, v60, v61 offset0:4 offset1:5
	;; [unrolled: 1-line block ×3, first 2 shown]
	s_wait_dscnt 0x0
	s_barrier_signal -1
	s_barrier_wait -1
	ds_load_b128 v[56:59], v120
	v_add_nc_u32_e32 v64, s4, v72
	s_delay_alu instid0(VALU_DEP_1)
	v_lshlrev_b32_e32 v62, 1, v64
	s_wait_dscnt 0x0
	v_cvt_f16_f32_e32 v56, v56
	v_cvt_f16_f32_e32 v60, v57
	;; [unrolled: 1-line block ×4, first 2 shown]
	s_delay_alu instid0(VALU_DEP_3) | instskip(NEXT) | instid1(VALU_DEP_2)
	v_pack_b32_f16 v56, v56, v60
	v_pack_b32_f16 v57, v57, v58
	ds_load_b128 v[58:61], v120 offset:16
	s_wait_dscnt 0x0
	v_cvt_f16_f32_e32 v58, v58
	v_cvt_f16_f32_e32 v63, v59
	;; [unrolled: 1-line block ×4, first 2 shown]
	s_delay_alu instid0(VALU_DEP_3) | instskip(NEXT) | instid1(VALU_DEP_2)
	v_pack_b32_f16 v58, v58, v63
	v_pack_b32_f16 v59, v59, v60
	buffer_store_b128 v[56:59], v62, s[0:3], null offen
	s_wait_dscnt 0x0
	s_barrier_signal -1
	s_barrier_wait -1
	ds_store_2addr_stride64_b32 v128, v48, v49 offset1:1
	ds_store_2addr_stride64_b32 v128, v50, v51 offset0:2 offset1:3
	ds_store_2addr_stride64_b32 v128, v52, v53 offset0:4 offset1:5
	;; [unrolled: 1-line block ×3, first 2 shown]
	s_wait_dscnt 0x0
	s_barrier_signal -1
	s_barrier_wait -1
	ds_load_b128 v[48:51], v120
	v_add_nc_u32_e32 v56, 64, v64
	s_wait_dscnt 0x0
	v_cvt_f16_f32_e32 v48, v48
	v_cvt_f16_f32_e32 v52, v49
	;; [unrolled: 1-line block ×4, first 2 shown]
	s_delay_alu instid0(VALU_DEP_3) | instskip(NEXT) | instid1(VALU_DEP_2)
	v_pack_b32_f16 v48, v48, v52
	v_pack_b32_f16 v49, v49, v50
	v_lshlrev_b32_e32 v50, 1, v56
	buffer_store_b64 v[48:49], v50, s[0:3], null offen
	ds_load_b128 v[48:51], v120 offset:16
	s_wait_dscnt 0x0
	v_cvt_f16_f32_e32 v48, v48
	v_cvt_f16_f32_e32 v52, v49
	;; [unrolled: 1-line block ×4, first 2 shown]
	s_delay_alu instid0(VALU_DEP_3) | instskip(NEXT) | instid1(VALU_DEP_2)
	v_pack_b32_f16 v48, v48, v52
	v_pack_b32_f16 v49, v49, v50
	buffer_store_b64 v[48:49], v62, s[0:3], null offen offset:136
	s_wait_dscnt 0x0
	s_barrier_signal -1
	s_barrier_wait -1
	ds_store_2addr_stride64_b32 v128, v40, v41 offset1:1
	ds_store_2addr_stride64_b32 v128, v42, v43 offset0:2 offset1:3
	ds_store_2addr_stride64_b32 v128, v44, v45 offset0:4 offset1:5
	;; [unrolled: 1-line block ×3, first 2 shown]
	s_wait_dscnt 0x0
	s_barrier_signal -1
	s_barrier_wait -1
	ds_load_b128 v[40:43], v120
	v_add_lshl_u32 v46, v56, s4, 1
	s_wait_dscnt 0x0
	v_cvt_f16_f32_e32 v40, v40
	v_cvt_f16_f32_e32 v44, v41
	;; [unrolled: 1-line block ×4, first 2 shown]
	s_delay_alu instid0(VALU_DEP_3) | instskip(NEXT) | instid1(VALU_DEP_2)
	v_pack_b32_f16 v40, v40, v44
	v_pack_b32_f16 v41, v41, v42
	ds_load_b128 v[42:45], v120 offset:16
	s_wait_dscnt 0x0
	v_cvt_f16_f32_e32 v42, v42
	v_cvt_f16_f32_e32 v47, v43
	;; [unrolled: 1-line block ×4, first 2 shown]
	s_delay_alu instid0(VALU_DEP_3) | instskip(NEXT) | instid1(VALU_DEP_2)
	v_pack_b32_f16 v42, v42, v47
	v_pack_b32_f16 v43, v43, v44
	buffer_store_b128 v[40:43], v46, s[0:3], null offen
	s_wait_dscnt 0x0
	s_barrier_signal -1
	s_barrier_wait -1
	ds_store_2addr_stride64_b32 v128, v32, v33 offset1:1
	ds_store_2addr_stride64_b32 v128, v34, v35 offset0:2 offset1:3
	ds_store_2addr_stride64_b32 v128, v36, v37 offset0:4 offset1:5
	;; [unrolled: 1-line block ×3, first 2 shown]
	s_wait_dscnt 0x0
	s_barrier_signal -1
	s_barrier_wait -1
	ds_load_b128 v[32:35], v120
	v_add_nc_u32_e32 v40, s4, v64
	s_delay_alu instid0(VALU_DEP_1)
	v_lshlrev_b32_e32 v38, 1, v40
	s_wait_dscnt 0x0
	v_cvt_f16_f32_e32 v32, v32
	v_cvt_f16_f32_e32 v36, v33
	;; [unrolled: 1-line block ×4, first 2 shown]
	s_delay_alu instid0(VALU_DEP_3) | instskip(NEXT) | instid1(VALU_DEP_2)
	v_pack_b32_f16 v32, v32, v36
	v_pack_b32_f16 v33, v33, v34
	ds_load_b128 v[34:37], v120 offset:16
	s_wait_dscnt 0x0
	v_cvt_f16_f32_e32 v34, v34
	v_cvt_f16_f32_e32 v39, v35
	;; [unrolled: 1-line block ×4, first 2 shown]
	s_delay_alu instid0(VALU_DEP_3) | instskip(NEXT) | instid1(VALU_DEP_2)
	v_pack_b32_f16 v34, v34, v39
	v_pack_b32_f16 v35, v35, v36
	buffer_store_b128 v[32:35], v38, s[0:3], null offen
	s_wait_dscnt 0x0
	s_barrier_signal -1
	s_barrier_wait -1
	ds_store_2addr_stride64_b32 v128, v24, v25 offset1:1
	ds_store_2addr_stride64_b32 v128, v26, v27 offset0:2 offset1:3
	ds_store_2addr_stride64_b32 v128, v28, v29 offset0:4 offset1:5
	;; [unrolled: 1-line block ×3, first 2 shown]
	s_wait_dscnt 0x0
	s_barrier_signal -1
	s_barrier_wait -1
	ds_load_b128 v[24:27], v120
	v_add_nc_u32_e32 v32, s4, v40
	s_delay_alu instid0(VALU_DEP_1)
	v_lshlrev_b32_e32 v30, 1, v32
	s_wait_dscnt 0x0
	v_cvt_f16_f32_e32 v24, v24
	v_cvt_f16_f32_e32 v28, v25
	;; [unrolled: 1-line block ×4, first 2 shown]
	s_delay_alu instid0(VALU_DEP_3) | instskip(NEXT) | instid1(VALU_DEP_2)
	v_pack_b32_f16 v24, v24, v28
	v_pack_b32_f16 v25, v25, v26
	ds_load_b128 v[26:29], v120 offset:16
	s_wait_dscnt 0x0
	v_cvt_f16_f32_e32 v26, v26
	v_cvt_f16_f32_e32 v31, v27
	;; [unrolled: 1-line block ×4, first 2 shown]
	s_delay_alu instid0(VALU_DEP_3) | instskip(NEXT) | instid1(VALU_DEP_2)
	v_pack_b32_f16 v26, v26, v31
	v_pack_b32_f16 v27, v27, v28
	buffer_store_b128 v[24:27], v30, s[0:3], null offen
	s_wait_dscnt 0x0
	s_barrier_signal -1
	s_barrier_wait -1
	ds_store_2addr_stride64_b32 v128, v16, v17 offset1:1
	ds_store_2addr_stride64_b32 v128, v18, v19 offset0:2 offset1:3
	ds_store_2addr_stride64_b32 v128, v20, v21 offset0:4 offset1:5
	;; [unrolled: 1-line block ×3, first 2 shown]
	s_wait_dscnt 0x0
	s_barrier_signal -1
	s_barrier_wait -1
	ds_load_b128 v[16:19], v120
	v_add_nc_u32_e32 v24, 64, v32
	s_wait_dscnt 0x0
	v_cvt_f16_f32_e32 v16, v16
	v_cvt_f16_f32_e32 v20, v17
	;; [unrolled: 1-line block ×4, first 2 shown]
	s_delay_alu instid0(VALU_DEP_3) | instskip(NEXT) | instid1(VALU_DEP_2)
	v_pack_b32_f16 v16, v16, v20
	v_pack_b32_f16 v17, v17, v18
	v_lshlrev_b32_e32 v18, 1, v24
	buffer_store_b64 v[16:17], v18, s[0:3], null offen
	ds_load_b128 v[16:19], v120 offset:16
	s_wait_dscnt 0x0
	v_cvt_f16_f32_e32 v16, v16
	v_cvt_f16_f32_e32 v20, v17
	;; [unrolled: 1-line block ×4, first 2 shown]
	s_delay_alu instid0(VALU_DEP_3) | instskip(NEXT) | instid1(VALU_DEP_2)
	v_pack_b32_f16 v16, v16, v20
	v_pack_b32_f16 v17, v17, v18
	buffer_store_b64 v[16:17], v30, s[0:3], null offen offset:136
	s_wait_dscnt 0x0
	s_barrier_signal -1
	s_barrier_wait -1
	ds_store_2addr_stride64_b32 v128, v8, v9 offset1:1
	ds_store_2addr_stride64_b32 v128, v10, v11 offset0:2 offset1:3
	ds_store_2addr_stride64_b32 v128, v12, v13 offset0:4 offset1:5
	ds_store_2addr_stride64_b32 v128, v14, v15 offset0:6 offset1:7
	s_wait_dscnt 0x0
	s_barrier_signal -1
	s_barrier_wait -1
	ds_load_b128 v[8:11], v120
	v_add_lshl_u32 v14, v24, s4, 1
	s_wait_dscnt 0x0
	v_cvt_f16_f32_e32 v8, v8
	v_cvt_f16_f32_e32 v12, v9
	;; [unrolled: 1-line block ×4, first 2 shown]
	s_delay_alu instid0(VALU_DEP_3) | instskip(NEXT) | instid1(VALU_DEP_2)
	v_pack_b32_f16 v8, v8, v12
	v_pack_b32_f16 v9, v9, v10
	ds_load_b128 v[10:13], v120 offset:16
	s_wait_dscnt 0x0
	v_cvt_f16_f32_e32 v10, v10
	v_cvt_f16_f32_e32 v15, v11
	;; [unrolled: 1-line block ×4, first 2 shown]
	s_delay_alu instid0(VALU_DEP_3) | instskip(NEXT) | instid1(VALU_DEP_2)
	v_pack_b32_f16 v10, v10, v15
	v_pack_b32_f16 v11, v11, v12
	buffer_store_b128 v[8:11], v14, s[0:3], null offen
	s_wait_dscnt 0x0
	s_barrier_signal -1
	s_barrier_wait -1
	ds_store_2addr_stride64_b32 v128, v0, v1 offset1:1
	ds_store_2addr_stride64_b32 v128, v2, v3 offset0:2 offset1:3
	ds_store_2addr_stride64_b32 v128, v4, v5 offset0:4 offset1:5
	ds_store_2addr_stride64_b32 v128, v6, v7 offset0:6 offset1:7
	s_wait_dscnt 0x0
	s_barrier_signal -1
	s_barrier_wait -1
	ds_load_b128 v[0:3], v120
	v_add_lshl_u32 v6, v32, s4, 1
	s_wait_dscnt 0x0
	v_cvt_f16_f32_e32 v0, v0
	v_cvt_f16_f32_e32 v4, v1
	;; [unrolled: 1-line block ×4, first 2 shown]
	s_delay_alu instid0(VALU_DEP_3) | instskip(NEXT) | instid1(VALU_DEP_2)
	v_pack_b32_f16 v0, v0, v4
	v_pack_b32_f16 v1, v1, v2
	ds_load_b128 v[2:5], v120 offset:16
	s_wait_dscnt 0x0
	v_cvt_f16_f32_e32 v2, v2
	v_cvt_f16_f32_e32 v7, v3
	;; [unrolled: 1-line block ×4, first 2 shown]
	s_delay_alu instid0(VALU_DEP_3) | instskip(NEXT) | instid1(VALU_DEP_2)
	v_pack_b32_f16 v2, v2, v7
	v_pack_b32_f16 v3, v3, v4
	buffer_store_b128 v[0:3], v6, s[0:3], null offen
	s_nop 0
	s_sendmsg sendmsg(MSG_DEALLOC_VGPRS)
	s_endpgm
	.section	.rodata,"a",@progbits
	.p2align	6, 0x0
	.amdhsa_kernel _ZN2ck27kernel_gemm_xdl_cshuffle_v1INS_43GridwiseGemm_k0mk1_k0nk1_mn_xdl_cshuffle_v1INS_13tensor_layout4gemm8RowMajorENS3_11ColumnMajorES4_NS_9f8_fnuz_tENS_10bf8_fnuz_tEffDF16_NS_16tensor_operation12element_wise11PassThroughESA_SA_LNS8_6device18GemmSpecializationE0ELNS_25InMemoryDataOperationEnumE0ELi1ELi256ELi256ELi128ELi64ELi16ELi16ELi16ELi16ELi8ELi2ENS_8SequenceIJLi4ELi64ELi1EEEENSE_IJLi1ELi0ELi2EEEESG_Li2ELi16ELi16ELb0ELi1ESF_SG_SG_Li2ELi8ELi8ELb0ELi1ELi1ELi1ENSE_IJLi1ELi32ELi1ELi8EEEELi4ELNS_13LoopSchedulerE0ELNS_15PipelineVersionE0ES6_S7_EELb1EEEvNT_8ArgumentE
		.amdhsa_group_segment_fixed_size 24672
		.amdhsa_private_segment_fixed_size 0
		.amdhsa_kernarg_size 96
		.amdhsa_user_sgpr_count 2
		.amdhsa_user_sgpr_dispatch_ptr 0
		.amdhsa_user_sgpr_queue_ptr 0
		.amdhsa_user_sgpr_kernarg_segment_ptr 1
		.amdhsa_user_sgpr_dispatch_id 0
		.amdhsa_user_sgpr_private_segment_size 0
		.amdhsa_wavefront_size32 1
		.amdhsa_uses_dynamic_stack 0
		.amdhsa_enable_private_segment 0
		.amdhsa_system_sgpr_workgroup_id_x 1
		.amdhsa_system_sgpr_workgroup_id_y 0
		.amdhsa_system_sgpr_workgroup_id_z 0
		.amdhsa_system_sgpr_workgroup_info 0
		.amdhsa_system_vgpr_workitem_id 0
		.amdhsa_next_free_vgpr 189
		.amdhsa_next_free_sgpr 32
		.amdhsa_reserve_vcc 0
		.amdhsa_float_round_mode_32 0
		.amdhsa_float_round_mode_16_64 0
		.amdhsa_float_denorm_mode_32 3
		.amdhsa_float_denorm_mode_16_64 3
		.amdhsa_fp16_overflow 0
		.amdhsa_workgroup_processor_mode 1
		.amdhsa_memory_ordered 1
		.amdhsa_forward_progress 1
		.amdhsa_inst_pref_size 53
		.amdhsa_round_robin_scheduling 0
		.amdhsa_exception_fp_ieee_invalid_op 0
		.amdhsa_exception_fp_denorm_src 0
		.amdhsa_exception_fp_ieee_div_zero 0
		.amdhsa_exception_fp_ieee_overflow 0
		.amdhsa_exception_fp_ieee_underflow 0
		.amdhsa_exception_fp_ieee_inexact 0
		.amdhsa_exception_int_div_zero 0
	.end_amdhsa_kernel
	.section	.text._ZN2ck27kernel_gemm_xdl_cshuffle_v1INS_43GridwiseGemm_k0mk1_k0nk1_mn_xdl_cshuffle_v1INS_13tensor_layout4gemm8RowMajorENS3_11ColumnMajorES4_NS_9f8_fnuz_tENS_10bf8_fnuz_tEffDF16_NS_16tensor_operation12element_wise11PassThroughESA_SA_LNS8_6device18GemmSpecializationE0ELNS_25InMemoryDataOperationEnumE0ELi1ELi256ELi256ELi128ELi64ELi16ELi16ELi16ELi16ELi8ELi2ENS_8SequenceIJLi4ELi64ELi1EEEENSE_IJLi1ELi0ELi2EEEESG_Li2ELi16ELi16ELb0ELi1ESF_SG_SG_Li2ELi8ELi8ELb0ELi1ELi1ELi1ENSE_IJLi1ELi32ELi1ELi8EEEELi4ELNS_13LoopSchedulerE0ELNS_15PipelineVersionE0ES6_S7_EELb1EEEvNT_8ArgumentE,"axG",@progbits,_ZN2ck27kernel_gemm_xdl_cshuffle_v1INS_43GridwiseGemm_k0mk1_k0nk1_mn_xdl_cshuffle_v1INS_13tensor_layout4gemm8RowMajorENS3_11ColumnMajorES4_NS_9f8_fnuz_tENS_10bf8_fnuz_tEffDF16_NS_16tensor_operation12element_wise11PassThroughESA_SA_LNS8_6device18GemmSpecializationE0ELNS_25InMemoryDataOperationEnumE0ELi1ELi256ELi256ELi128ELi64ELi16ELi16ELi16ELi16ELi8ELi2ENS_8SequenceIJLi4ELi64ELi1EEEENSE_IJLi1ELi0ELi2EEEESG_Li2ELi16ELi16ELb0ELi1ESF_SG_SG_Li2ELi8ELi8ELb0ELi1ELi1ELi1ENSE_IJLi1ELi32ELi1ELi8EEEELi4ELNS_13LoopSchedulerE0ELNS_15PipelineVersionE0ES6_S7_EELb1EEEvNT_8ArgumentE,comdat
.Lfunc_end3:
	.size	_ZN2ck27kernel_gemm_xdl_cshuffle_v1INS_43GridwiseGemm_k0mk1_k0nk1_mn_xdl_cshuffle_v1INS_13tensor_layout4gemm8RowMajorENS3_11ColumnMajorES4_NS_9f8_fnuz_tENS_10bf8_fnuz_tEffDF16_NS_16tensor_operation12element_wise11PassThroughESA_SA_LNS8_6device18GemmSpecializationE0ELNS_25InMemoryDataOperationEnumE0ELi1ELi256ELi256ELi128ELi64ELi16ELi16ELi16ELi16ELi8ELi2ENS_8SequenceIJLi4ELi64ELi1EEEENSE_IJLi1ELi0ELi2EEEESG_Li2ELi16ELi16ELb0ELi1ESF_SG_SG_Li2ELi8ELi8ELb0ELi1ELi1ELi1ENSE_IJLi1ELi32ELi1ELi8EEEELi4ELNS_13LoopSchedulerE0ELNS_15PipelineVersionE0ES6_S7_EELb1EEEvNT_8ArgumentE, .Lfunc_end3-_ZN2ck27kernel_gemm_xdl_cshuffle_v1INS_43GridwiseGemm_k0mk1_k0nk1_mn_xdl_cshuffle_v1INS_13tensor_layout4gemm8RowMajorENS3_11ColumnMajorES4_NS_9f8_fnuz_tENS_10bf8_fnuz_tEffDF16_NS_16tensor_operation12element_wise11PassThroughESA_SA_LNS8_6device18GemmSpecializationE0ELNS_25InMemoryDataOperationEnumE0ELi1ELi256ELi256ELi128ELi64ELi16ELi16ELi16ELi16ELi8ELi2ENS_8SequenceIJLi4ELi64ELi1EEEENSE_IJLi1ELi0ELi2EEEESG_Li2ELi16ELi16ELb0ELi1ESF_SG_SG_Li2ELi8ELi8ELb0ELi1ELi1ELi1ENSE_IJLi1ELi32ELi1ELi8EEEELi4ELNS_13LoopSchedulerE0ELNS_15PipelineVersionE0ES6_S7_EELb1EEEvNT_8ArgumentE
                                        ; -- End function
	.set _ZN2ck27kernel_gemm_xdl_cshuffle_v1INS_43GridwiseGemm_k0mk1_k0nk1_mn_xdl_cshuffle_v1INS_13tensor_layout4gemm8RowMajorENS3_11ColumnMajorES4_NS_9f8_fnuz_tENS_10bf8_fnuz_tEffDF16_NS_16tensor_operation12element_wise11PassThroughESA_SA_LNS8_6device18GemmSpecializationE0ELNS_25InMemoryDataOperationEnumE0ELi1ELi256ELi256ELi128ELi64ELi16ELi16ELi16ELi16ELi8ELi2ENS_8SequenceIJLi4ELi64ELi1EEEENSE_IJLi1ELi0ELi2EEEESG_Li2ELi16ELi16ELb0ELi1ESF_SG_SG_Li2ELi8ELi8ELb0ELi1ELi1ELi1ENSE_IJLi1ELi32ELi1ELi8EEEELi4ELNS_13LoopSchedulerE0ELNS_15PipelineVersionE0ES6_S7_EELb1EEEvNT_8ArgumentE.num_vgpr, 189
	.set _ZN2ck27kernel_gemm_xdl_cshuffle_v1INS_43GridwiseGemm_k0mk1_k0nk1_mn_xdl_cshuffle_v1INS_13tensor_layout4gemm8RowMajorENS3_11ColumnMajorES4_NS_9f8_fnuz_tENS_10bf8_fnuz_tEffDF16_NS_16tensor_operation12element_wise11PassThroughESA_SA_LNS8_6device18GemmSpecializationE0ELNS_25InMemoryDataOperationEnumE0ELi1ELi256ELi256ELi128ELi64ELi16ELi16ELi16ELi16ELi8ELi2ENS_8SequenceIJLi4ELi64ELi1EEEENSE_IJLi1ELi0ELi2EEEESG_Li2ELi16ELi16ELb0ELi1ESF_SG_SG_Li2ELi8ELi8ELb0ELi1ELi1ELi1ENSE_IJLi1ELi32ELi1ELi8EEEELi4ELNS_13LoopSchedulerE0ELNS_15PipelineVersionE0ES6_S7_EELb1EEEvNT_8ArgumentE.num_agpr, 0
	.set _ZN2ck27kernel_gemm_xdl_cshuffle_v1INS_43GridwiseGemm_k0mk1_k0nk1_mn_xdl_cshuffle_v1INS_13tensor_layout4gemm8RowMajorENS3_11ColumnMajorES4_NS_9f8_fnuz_tENS_10bf8_fnuz_tEffDF16_NS_16tensor_operation12element_wise11PassThroughESA_SA_LNS8_6device18GemmSpecializationE0ELNS_25InMemoryDataOperationEnumE0ELi1ELi256ELi256ELi128ELi64ELi16ELi16ELi16ELi16ELi8ELi2ENS_8SequenceIJLi4ELi64ELi1EEEENSE_IJLi1ELi0ELi2EEEESG_Li2ELi16ELi16ELb0ELi1ESF_SG_SG_Li2ELi8ELi8ELb0ELi1ELi1ELi1ENSE_IJLi1ELi32ELi1ELi8EEEELi4ELNS_13LoopSchedulerE0ELNS_15PipelineVersionE0ES6_S7_EELb1EEEvNT_8ArgumentE.numbered_sgpr, 32
	.set _ZN2ck27kernel_gemm_xdl_cshuffle_v1INS_43GridwiseGemm_k0mk1_k0nk1_mn_xdl_cshuffle_v1INS_13tensor_layout4gemm8RowMajorENS3_11ColumnMajorES4_NS_9f8_fnuz_tENS_10bf8_fnuz_tEffDF16_NS_16tensor_operation12element_wise11PassThroughESA_SA_LNS8_6device18GemmSpecializationE0ELNS_25InMemoryDataOperationEnumE0ELi1ELi256ELi256ELi128ELi64ELi16ELi16ELi16ELi16ELi8ELi2ENS_8SequenceIJLi4ELi64ELi1EEEENSE_IJLi1ELi0ELi2EEEESG_Li2ELi16ELi16ELb0ELi1ESF_SG_SG_Li2ELi8ELi8ELb0ELi1ELi1ELi1ENSE_IJLi1ELi32ELi1ELi8EEEELi4ELNS_13LoopSchedulerE0ELNS_15PipelineVersionE0ES6_S7_EELb1EEEvNT_8ArgumentE.num_named_barrier, 0
	.set _ZN2ck27kernel_gemm_xdl_cshuffle_v1INS_43GridwiseGemm_k0mk1_k0nk1_mn_xdl_cshuffle_v1INS_13tensor_layout4gemm8RowMajorENS3_11ColumnMajorES4_NS_9f8_fnuz_tENS_10bf8_fnuz_tEffDF16_NS_16tensor_operation12element_wise11PassThroughESA_SA_LNS8_6device18GemmSpecializationE0ELNS_25InMemoryDataOperationEnumE0ELi1ELi256ELi256ELi128ELi64ELi16ELi16ELi16ELi16ELi8ELi2ENS_8SequenceIJLi4ELi64ELi1EEEENSE_IJLi1ELi0ELi2EEEESG_Li2ELi16ELi16ELb0ELi1ESF_SG_SG_Li2ELi8ELi8ELb0ELi1ELi1ELi1ENSE_IJLi1ELi32ELi1ELi8EEEELi4ELNS_13LoopSchedulerE0ELNS_15PipelineVersionE0ES6_S7_EELb1EEEvNT_8ArgumentE.private_seg_size, 0
	.set _ZN2ck27kernel_gemm_xdl_cshuffle_v1INS_43GridwiseGemm_k0mk1_k0nk1_mn_xdl_cshuffle_v1INS_13tensor_layout4gemm8RowMajorENS3_11ColumnMajorES4_NS_9f8_fnuz_tENS_10bf8_fnuz_tEffDF16_NS_16tensor_operation12element_wise11PassThroughESA_SA_LNS8_6device18GemmSpecializationE0ELNS_25InMemoryDataOperationEnumE0ELi1ELi256ELi256ELi128ELi64ELi16ELi16ELi16ELi16ELi8ELi2ENS_8SequenceIJLi4ELi64ELi1EEEENSE_IJLi1ELi0ELi2EEEESG_Li2ELi16ELi16ELb0ELi1ESF_SG_SG_Li2ELi8ELi8ELb0ELi1ELi1ELi1ENSE_IJLi1ELi32ELi1ELi8EEEELi4ELNS_13LoopSchedulerE0ELNS_15PipelineVersionE0ES6_S7_EELb1EEEvNT_8ArgumentE.uses_vcc, 0
	.set _ZN2ck27kernel_gemm_xdl_cshuffle_v1INS_43GridwiseGemm_k0mk1_k0nk1_mn_xdl_cshuffle_v1INS_13tensor_layout4gemm8RowMajorENS3_11ColumnMajorES4_NS_9f8_fnuz_tENS_10bf8_fnuz_tEffDF16_NS_16tensor_operation12element_wise11PassThroughESA_SA_LNS8_6device18GemmSpecializationE0ELNS_25InMemoryDataOperationEnumE0ELi1ELi256ELi256ELi128ELi64ELi16ELi16ELi16ELi16ELi8ELi2ENS_8SequenceIJLi4ELi64ELi1EEEENSE_IJLi1ELi0ELi2EEEESG_Li2ELi16ELi16ELb0ELi1ESF_SG_SG_Li2ELi8ELi8ELb0ELi1ELi1ELi1ENSE_IJLi1ELi32ELi1ELi8EEEELi4ELNS_13LoopSchedulerE0ELNS_15PipelineVersionE0ES6_S7_EELb1EEEvNT_8ArgumentE.uses_flat_scratch, 0
	.set _ZN2ck27kernel_gemm_xdl_cshuffle_v1INS_43GridwiseGemm_k0mk1_k0nk1_mn_xdl_cshuffle_v1INS_13tensor_layout4gemm8RowMajorENS3_11ColumnMajorES4_NS_9f8_fnuz_tENS_10bf8_fnuz_tEffDF16_NS_16tensor_operation12element_wise11PassThroughESA_SA_LNS8_6device18GemmSpecializationE0ELNS_25InMemoryDataOperationEnumE0ELi1ELi256ELi256ELi128ELi64ELi16ELi16ELi16ELi16ELi8ELi2ENS_8SequenceIJLi4ELi64ELi1EEEENSE_IJLi1ELi0ELi2EEEESG_Li2ELi16ELi16ELb0ELi1ESF_SG_SG_Li2ELi8ELi8ELb0ELi1ELi1ELi1ENSE_IJLi1ELi32ELi1ELi8EEEELi4ELNS_13LoopSchedulerE0ELNS_15PipelineVersionE0ES6_S7_EELb1EEEvNT_8ArgumentE.has_dyn_sized_stack, 0
	.set _ZN2ck27kernel_gemm_xdl_cshuffle_v1INS_43GridwiseGemm_k0mk1_k0nk1_mn_xdl_cshuffle_v1INS_13tensor_layout4gemm8RowMajorENS3_11ColumnMajorES4_NS_9f8_fnuz_tENS_10bf8_fnuz_tEffDF16_NS_16tensor_operation12element_wise11PassThroughESA_SA_LNS8_6device18GemmSpecializationE0ELNS_25InMemoryDataOperationEnumE0ELi1ELi256ELi256ELi128ELi64ELi16ELi16ELi16ELi16ELi8ELi2ENS_8SequenceIJLi4ELi64ELi1EEEENSE_IJLi1ELi0ELi2EEEESG_Li2ELi16ELi16ELb0ELi1ESF_SG_SG_Li2ELi8ELi8ELb0ELi1ELi1ELi1ENSE_IJLi1ELi32ELi1ELi8EEEELi4ELNS_13LoopSchedulerE0ELNS_15PipelineVersionE0ES6_S7_EELb1EEEvNT_8ArgumentE.has_recursion, 0
	.set _ZN2ck27kernel_gemm_xdl_cshuffle_v1INS_43GridwiseGemm_k0mk1_k0nk1_mn_xdl_cshuffle_v1INS_13tensor_layout4gemm8RowMajorENS3_11ColumnMajorES4_NS_9f8_fnuz_tENS_10bf8_fnuz_tEffDF16_NS_16tensor_operation12element_wise11PassThroughESA_SA_LNS8_6device18GemmSpecializationE0ELNS_25InMemoryDataOperationEnumE0ELi1ELi256ELi256ELi128ELi64ELi16ELi16ELi16ELi16ELi8ELi2ENS_8SequenceIJLi4ELi64ELi1EEEENSE_IJLi1ELi0ELi2EEEESG_Li2ELi16ELi16ELb0ELi1ESF_SG_SG_Li2ELi8ELi8ELb0ELi1ELi1ELi1ENSE_IJLi1ELi32ELi1ELi8EEEELi4ELNS_13LoopSchedulerE0ELNS_15PipelineVersionE0ES6_S7_EELb1EEEvNT_8ArgumentE.has_indirect_call, 0
	.section	.AMDGPU.csdata,"",@progbits
; Kernel info:
; codeLenInByte = 6688
; TotalNumSgprs: 32
; NumVgprs: 189
; ScratchSize: 0
; MemoryBound: 0
; FloatMode: 240
; IeeeMode: 1
; LDSByteSize: 24672 bytes/workgroup (compile time only)
; SGPRBlocks: 0
; VGPRBlocks: 23
; NumSGPRsForWavesPerEU: 32
; NumVGPRsForWavesPerEU: 189
; Occupancy: 8
; WaveLimiterHint : 0
; COMPUTE_PGM_RSRC2:SCRATCH_EN: 0
; COMPUTE_PGM_RSRC2:USER_SGPR: 2
; COMPUTE_PGM_RSRC2:TRAP_HANDLER: 0
; COMPUTE_PGM_RSRC2:TGID_X_EN: 1
; COMPUTE_PGM_RSRC2:TGID_Y_EN: 0
; COMPUTE_PGM_RSRC2:TGID_Z_EN: 0
; COMPUTE_PGM_RSRC2:TIDIG_COMP_CNT: 0
	.section	.text._ZN2ck27kernel_gemm_xdl_cshuffle_v1INS_43GridwiseGemm_k0mk1_k0nk1_mn_xdl_cshuffle_v1INS_13tensor_layout4gemm8RowMajorENS3_11ColumnMajorES4_NS_9f8_fnuz_tENS_10bf8_fnuz_tEffDF16_NS_16tensor_operation12element_wise11PassThroughESA_SA_LNS8_6device18GemmSpecializationE0ELNS_25InMemoryDataOperationEnumE0ELi1ELi256ELi256ELi128ELi64ELi16ELi16ELi16ELi16ELi8ELi2ENS_8SequenceIJLi4ELi64ELi1EEEENSE_IJLi1ELi0ELi2EEEESG_Li2ELi16ELi16ELb0ELi1ESF_SG_SG_Li2ELi8ELi8ELb0ELi1ELi1ELi1ENSE_IJLi1ELi32ELi1ELi8EEEELi4ELNS_13LoopSchedulerE0ELNS_15PipelineVersionE0ES6_S7_EELb0EEEvNT_8ArgumentE,"axG",@progbits,_ZN2ck27kernel_gemm_xdl_cshuffle_v1INS_43GridwiseGemm_k0mk1_k0nk1_mn_xdl_cshuffle_v1INS_13tensor_layout4gemm8RowMajorENS3_11ColumnMajorES4_NS_9f8_fnuz_tENS_10bf8_fnuz_tEffDF16_NS_16tensor_operation12element_wise11PassThroughESA_SA_LNS8_6device18GemmSpecializationE0ELNS_25InMemoryDataOperationEnumE0ELi1ELi256ELi256ELi128ELi64ELi16ELi16ELi16ELi16ELi8ELi2ENS_8SequenceIJLi4ELi64ELi1EEEENSE_IJLi1ELi0ELi2EEEESG_Li2ELi16ELi16ELb0ELi1ESF_SG_SG_Li2ELi8ELi8ELb0ELi1ELi1ELi1ENSE_IJLi1ELi32ELi1ELi8EEEELi4ELNS_13LoopSchedulerE0ELNS_15PipelineVersionE0ES6_S7_EELb0EEEvNT_8ArgumentE,comdat
	.protected	_ZN2ck27kernel_gemm_xdl_cshuffle_v1INS_43GridwiseGemm_k0mk1_k0nk1_mn_xdl_cshuffle_v1INS_13tensor_layout4gemm8RowMajorENS3_11ColumnMajorES4_NS_9f8_fnuz_tENS_10bf8_fnuz_tEffDF16_NS_16tensor_operation12element_wise11PassThroughESA_SA_LNS8_6device18GemmSpecializationE0ELNS_25InMemoryDataOperationEnumE0ELi1ELi256ELi256ELi128ELi64ELi16ELi16ELi16ELi16ELi8ELi2ENS_8SequenceIJLi4ELi64ELi1EEEENSE_IJLi1ELi0ELi2EEEESG_Li2ELi16ELi16ELb0ELi1ESF_SG_SG_Li2ELi8ELi8ELb0ELi1ELi1ELi1ENSE_IJLi1ELi32ELi1ELi8EEEELi4ELNS_13LoopSchedulerE0ELNS_15PipelineVersionE0ES6_S7_EELb0EEEvNT_8ArgumentE ; -- Begin function _ZN2ck27kernel_gemm_xdl_cshuffle_v1INS_43GridwiseGemm_k0mk1_k0nk1_mn_xdl_cshuffle_v1INS_13tensor_layout4gemm8RowMajorENS3_11ColumnMajorES4_NS_9f8_fnuz_tENS_10bf8_fnuz_tEffDF16_NS_16tensor_operation12element_wise11PassThroughESA_SA_LNS8_6device18GemmSpecializationE0ELNS_25InMemoryDataOperationEnumE0ELi1ELi256ELi256ELi128ELi64ELi16ELi16ELi16ELi16ELi8ELi2ENS_8SequenceIJLi4ELi64ELi1EEEENSE_IJLi1ELi0ELi2EEEESG_Li2ELi16ELi16ELb0ELi1ESF_SG_SG_Li2ELi8ELi8ELb0ELi1ELi1ELi1ENSE_IJLi1ELi32ELi1ELi8EEEELi4ELNS_13LoopSchedulerE0ELNS_15PipelineVersionE0ES6_S7_EELb0EEEvNT_8ArgumentE
	.globl	_ZN2ck27kernel_gemm_xdl_cshuffle_v1INS_43GridwiseGemm_k0mk1_k0nk1_mn_xdl_cshuffle_v1INS_13tensor_layout4gemm8RowMajorENS3_11ColumnMajorES4_NS_9f8_fnuz_tENS_10bf8_fnuz_tEffDF16_NS_16tensor_operation12element_wise11PassThroughESA_SA_LNS8_6device18GemmSpecializationE0ELNS_25InMemoryDataOperationEnumE0ELi1ELi256ELi256ELi128ELi64ELi16ELi16ELi16ELi16ELi8ELi2ENS_8SequenceIJLi4ELi64ELi1EEEENSE_IJLi1ELi0ELi2EEEESG_Li2ELi16ELi16ELb0ELi1ESF_SG_SG_Li2ELi8ELi8ELb0ELi1ELi1ELi1ENSE_IJLi1ELi32ELi1ELi8EEEELi4ELNS_13LoopSchedulerE0ELNS_15PipelineVersionE0ES6_S7_EELb0EEEvNT_8ArgumentE
	.p2align	8
	.type	_ZN2ck27kernel_gemm_xdl_cshuffle_v1INS_43GridwiseGemm_k0mk1_k0nk1_mn_xdl_cshuffle_v1INS_13tensor_layout4gemm8RowMajorENS3_11ColumnMajorES4_NS_9f8_fnuz_tENS_10bf8_fnuz_tEffDF16_NS_16tensor_operation12element_wise11PassThroughESA_SA_LNS8_6device18GemmSpecializationE0ELNS_25InMemoryDataOperationEnumE0ELi1ELi256ELi256ELi128ELi64ELi16ELi16ELi16ELi16ELi8ELi2ENS_8SequenceIJLi4ELi64ELi1EEEENSE_IJLi1ELi0ELi2EEEESG_Li2ELi16ELi16ELb0ELi1ESF_SG_SG_Li2ELi8ELi8ELb0ELi1ELi1ELi1ENSE_IJLi1ELi32ELi1ELi8EEEELi4ELNS_13LoopSchedulerE0ELNS_15PipelineVersionE0ES6_S7_EELb0EEEvNT_8ArgumentE,@function
_ZN2ck27kernel_gemm_xdl_cshuffle_v1INS_43GridwiseGemm_k0mk1_k0nk1_mn_xdl_cshuffle_v1INS_13tensor_layout4gemm8RowMajorENS3_11ColumnMajorES4_NS_9f8_fnuz_tENS_10bf8_fnuz_tEffDF16_NS_16tensor_operation12element_wise11PassThroughESA_SA_LNS8_6device18GemmSpecializationE0ELNS_25InMemoryDataOperationEnumE0ELi1ELi256ELi256ELi128ELi64ELi16ELi16ELi16ELi16ELi8ELi2ENS_8SequenceIJLi4ELi64ELi1EEEENSE_IJLi1ELi0ELi2EEEESG_Li2ELi16ELi16ELb0ELi1ESF_SG_SG_Li2ELi8ELi8ELb0ELi1ELi1ELi1ENSE_IJLi1ELi32ELi1ELi8EEEELi4ELNS_13LoopSchedulerE0ELNS_15PipelineVersionE0ES6_S7_EELb0EEEvNT_8ArgumentE: ; @_ZN2ck27kernel_gemm_xdl_cshuffle_v1INS_43GridwiseGemm_k0mk1_k0nk1_mn_xdl_cshuffle_v1INS_13tensor_layout4gemm8RowMajorENS3_11ColumnMajorES4_NS_9f8_fnuz_tENS_10bf8_fnuz_tEffDF16_NS_16tensor_operation12element_wise11PassThroughESA_SA_LNS8_6device18GemmSpecializationE0ELNS_25InMemoryDataOperationEnumE0ELi1ELi256ELi256ELi128ELi64ELi16ELi16ELi16ELi16ELi8ELi2ENS_8SequenceIJLi4ELi64ELi1EEEENSE_IJLi1ELi0ELi2EEEESG_Li2ELi16ELi16ELb0ELi1ESF_SG_SG_Li2ELi8ELi8ELb0ELi1ELi1ELi1ENSE_IJLi1ELi32ELi1ELi8EEEELi4ELNS_13LoopSchedulerE0ELNS_15PipelineVersionE0ES6_S7_EELb0EEEvNT_8ArgumentE
; %bb.0:
	s_clause 0x1
	s_load_b128 s[4:7], s[0:1], 0x10
	s_load_b64 s[16:17], s[0:1], 0x20
	s_abs_i32 s11, ttmp9
	v_and_b32_e32 v25, 0xfc, v0
	v_and_b32_e32 v26, 3, v0
	v_lshrrev_b32_e32 v27, 1, v0
	s_mov_b32 s21, 0
	v_lshrrev_b32_e32 v98, 3, v0
	s_mov_b32 s24, s21
	v_and_b32_e32 v29, 15, v0
	v_and_b32_e32 v28, 0x7e, v27
	v_lshlrev_b32_e32 v30, 3, v0
	v_lshlrev_b32_e32 v31, 1, v0
	v_and_b32_e32 v32, 16, v98
	v_and_b32_e32 v0, 2, v98
	v_mul_u32_u24_e32 v33, 0x810, v26
	v_lshlrev_b32_e32 v34, 4, v29
	v_and_b32_e32 v94, 56, v30
	v_or_b32_e32 v35, v32, v29
	v_mul_u32_u24_e32 v36, 0x1010, v0
	s_wait_kmcnt 0x0
	s_add_co_i32 s2, s4, 0xff
	s_add_co_i32 s3, s5, 0x7f
	s_ashr_i32 s8, s2, 31
	s_ashr_i32 s9, s3, 31
	s_lshr_b32 s8, s8, 24
	s_lshr_b32 s9, s9, 25
	s_add_co_i32 s2, s2, s8
	s_add_co_i32 s3, s3, s9
	s_ashr_i32 s2, s2, 8
	s_ashr_i32 s8, s3, 7
	s_add_co_i32 s19, s4, -1
	s_mul_i32 s3, s8, s2
	s_mov_b32 s25, s6
	s_abs_i32 s9, s3
	v_lshl_add_u32 v90, v35, 4, v36
	s_cvt_f32_u32 s3, s9
	s_sub_co_i32 s10, 0, s9
	s_delay_alu instid0(SALU_CYCLE_2) | instskip(NEXT) | instid1(TRANS32_DEP_1)
	v_rcp_iflag_f32_e32 v1, s3
	v_readfirstlane_b32 s3, v1
	s_mul_f32 s3, s3, 0x4f7ffffe
	s_wait_alu 0xfffe
	s_delay_alu instid0(SALU_CYCLE_2) | instskip(SKIP_1) | instid1(SALU_CYCLE_2)
	s_cvt_u32_f32 s3, s3
	s_wait_alu 0xfffe
	s_mul_i32 s10, s10, s3
	s_delay_alu instid0(SALU_CYCLE_1) | instskip(NEXT) | instid1(SALU_CYCLE_1)
	s_mul_hi_u32 s10, s3, s10
	s_add_co_i32 s3, s3, s10
	s_ashr_i32 s10, ttmp9, 31
	s_wait_alu 0xfffe
	s_mul_hi_u32 s3, s11, s3
	s_wait_alu 0xfffe
	s_mul_i32 s3, s3, s9
	s_wait_alu 0xfffe
	s_sub_co_i32 s4, s11, s3
	s_add_co_i32 s3, s5, -1
	s_sub_co_i32 s11, s4, s9
	s_cmp_ge_u32 s4, s9
	s_cselect_b32 s4, s11, s4
	s_delay_alu instid0(SALU_CYCLE_1)
	s_sub_co_i32 s11, s4, s9
	s_cmp_ge_u32 s4, s9
	s_cselect_b32 s4, s11, s4
	s_abs_i32 s9, s8
	s_xor_b32 s4, s4, s10
	s_cvt_f32_u32 s11, s9
	s_sub_co_i32 s12, 0, s9
	s_sub_co_i32 s4, s4, s10
	s_delay_alu instid0(SALU_CYCLE_1) | instskip(NEXT) | instid1(TRANS32_DEP_1)
	v_rcp_iflag_f32_e32 v1, s11
	v_readfirstlane_b32 s11, v1
	s_mul_f32 s11, s11, 0x4f7ffffe
	s_wait_alu 0xfffe
	s_delay_alu instid0(SALU_CYCLE_2) | instskip(SKIP_1) | instid1(SALU_CYCLE_2)
	s_cvt_u32_f32 s11, s11
	s_wait_alu 0xfffe
	s_mul_i32 s12, s12, s11
	s_delay_alu instid0(SALU_CYCLE_1)
	s_mul_hi_u32 s10, s11, s12
	s_abs_i32 s12, s4
	s_wait_alu 0xfffe
	s_add_co_i32 s11, s11, s10
	s_wait_alu 0xfffe
	s_mul_hi_u32 s10, s12, s11
	s_xor_b32 s11, s4, s8
	s_wait_alu 0xfffe
	s_mul_i32 s13, s10, s9
	s_ashr_i32 s11, s11, 31
	s_sub_co_i32 s12, s12, s13
	s_add_co_i32 s13, s10, 1
	s_sub_co_i32 s14, s12, s9
	s_cmp_ge_u32 s12, s9
	s_cselect_b32 s10, s13, s10
	s_cselect_b32 s12, s14, s12
	s_wait_alu 0xfffe
	s_add_co_i32 s13, s10, 1
	s_cmp_ge_u32 s12, s9
	s_cselect_b32 s9, s13, s10
	s_lshr_b32 s10, s2, 29
	s_xor_b32 s9, s9, s11
	s_wait_alu 0xfffe
	s_add_co_i32 s10, s2, s10
	s_sub_co_i32 s9, s9, s11
	s_wait_alu 0xfffe
	s_and_b32 s10, s10, -8
	s_mul_i32 s13, s9, s8
	s_wait_alu 0xfffe
	s_sub_co_i32 s2, s2, s10
	s_cmp_ge_i32 s9, s10
	s_wait_alu 0xfffe
	s_cselect_b32 s2, s2, 8
	s_ashr_i32 s12, s9, 31
	s_wait_alu 0xfffe
	s_abs_i32 s10, s2
	s_lshr_b32 s12, s12, 29
	s_wait_alu 0xfffe
	s_cvt_f32_u32 s11, s10
	s_add_co_i32 s12, s9, s12
	s_sub_co_i32 s4, s4, s13
	s_and_b32 s18, s12, -8
	s_wait_alu 0xfffe
	v_rcp_iflag_f32_e32 v1, s11
	s_sub_co_i32 s9, s9, s18
	s_sub_co_i32 s12, 0, s10
	s_mul_i32 s8, s9, s8
	s_delay_alu instid0(SALU_CYCLE_1) | instskip(NEXT) | instid1(SALU_CYCLE_1)
	s_add_co_i32 s8, s8, s4
	s_abs_i32 s9, s8
	s_delay_alu instid0(TRANS32_DEP_1) | instskip(SKIP_3) | instid1(SALU_CYCLE_2)
	v_readfirstlane_b32 s11, v1
	v_lshlrev_b32_e32 v1, 4, v26
	s_mul_f32 s11, s11, 0x4f7ffffe
	s_wait_alu 0xfffe
	s_cvt_u32_f32 s11, s11
	s_wait_alu 0xfffe
	s_delay_alu instid0(SALU_CYCLE_2) | instskip(NEXT) | instid1(SALU_CYCLE_1)
	s_mul_i32 s12, s12, s11
	s_mul_hi_u32 s4, s11, s12
	s_delay_alu instid0(SALU_CYCLE_1)
	s_add_co_i32 s11, s11, s4
	s_wait_alu 0xfffe
	s_mul_hi_u32 s4, s9, s11
	s_xor_b32 s11, s8, s2
	s_mul_i32 s12, s4, s10
	s_wait_alu 0xfffe
	s_ashr_i32 s20, s11, 31
	s_sub_co_i32 s9, s9, s12
	s_add_co_i32 s11, s4, 1
	s_sub_co_i32 s12, s9, s10
	s_cmp_ge_u32 s9, s10
	s_wait_alu 0xfffe
	s_cselect_b32 s4, s11, s4
	s_cselect_b32 s9, s12, s9
	s_add_co_i32 s12, s4, 1
	s_cmp_ge_u32 s9, s10
	s_mov_b32 s11, 0x31004000
	s_cselect_b32 s4, s12, s4
	s_load_b128 s[12:15], s[0:1], 0x48
	s_xor_b32 s4, s4, s20
	s_load_b64 s[0:1], s[0:1], 0x58
	s_sub_co_i32 s22, s4, s20
	s_mov_b32 s20, s7
	s_mul_i32 s2, s22, s2
	s_wait_alu 0xfffe
	s_sub_co_i32 s2, s8, s2
	s_wait_alu 0xfffe
	s_add_co_i32 s4, s18, s2
	s_mov_b32 s18, s21
	v_lshl_or_b32 v2, s4, 8, v25
	s_mov_b32 s2, s21
	s_mul_u64 s[26:27], s[18:19], s[20:21]
	s_mov_b32 s20, s16
	s_add_nc_u64 s[26:27], s[26:27], s[24:25]
	v_mad_co_u64_u32 v[2:3], null, v2, s7, v[1:2]
	v_lshl_or_b32 v3, s22, 7, v28
	s_wait_alu 0xfffe
	s_mul_u64 s[2:3], s[2:3], s[20:21]
	s_wait_kmcnt 0x0
	s_mov_b32 s8, s12
	s_mov_b32 s10, s27
	s_wait_alu 0xfffe
	s_add_nc_u64 s[2:3], s[2:3], s[24:25]
	s_and_b32 s9, s13, 0xffff
	v_mad_co_u64_u32 v[17:18], null, v3, s16, v[1:2]
	v_add_nc_u32_e32 v5, s7, v2
	v_lshlrev_b32_e32 v25, 4, v25
	s_mov_b32 s20, s17
	s_and_b32 s1, s1, 0xffff
	s_delay_alu instid0(VALU_DEP_2) | instskip(NEXT) | instid1(VALU_DEP_4)
	v_add_nc_u32_e32 v9, s7, v5
	v_add_nc_u32_e32 v23, s16, v17
	v_mad_u32_u24 v25, 0x1010, v26, v25
	v_lshl_add_u32 v26, v28, 4, v33
	v_and_or_b32 v28, 0x300, v30, v34
	v_add_nc_u32_e32 v13, s7, v9
	v_add_nc_u32_e32 v18, 8, v23
	s_clause 0x3
	buffer_load_b128 v[1:4], v2, s[8:11], null offen
	buffer_load_b128 v[5:8], v5, s[8:11], null offen
	;; [unrolled: 1-line block ×4, first 2 shown]
	s_and_b32 s9, s15, 0xffff
	s_mov_b32 s8, s14
	s_mov_b32 s10, s3
	s_clause 0x2
	buffer_load_b64 v[21:22], v18, s[8:11], null offen
	buffer_load_b128 v[17:20], v17, s[8:11], null offen
	buffer_load_b64 v[23:24], v23, s[8:11], null offen
	v_mad_u32_u24 v28, 0x810, v0, v28
	v_add_nc_u32_e32 v37, 0x4000, v26
	s_mul_u64 s[6:7], s[18:19], s[20:21]
	s_mov_b32 s3, s11
	s_wait_alu 0xfffe
	s_add_co_i32 s2, s5, s7
	s_wait_alu 0xfffe
	s_lshl_b32 s2, s2, 1
	s_wait_loadcnt 0x2
	v_and_b32_e32 v33, 0xff00, v22
	v_and_b32_e32 v22, 0xffff00ff, v22
	;; [unrolled: 1-line block ×4, first 2 shown]
	s_delay_alu instid0(VALU_DEP_3) | instskip(NEXT) | instid1(VALU_DEP_2)
	v_or_b32_e32 v22, v22, v33
	v_or_b32_e32 v21, v21, v34
	ds_store_b128 v25, v[1:4]
	ds_store_b128 v25, v[5:8] offset:16
	ds_store_b128 v25, v[9:12] offset:32
	;; [unrolled: 1-line block ×3, first 2 shown]
	s_wait_loadcnt 0x1
	ds_store_b128 v26, v[17:20] offset:16432
	s_wait_loadcnt 0x0
	ds_store_2addr_b64 v37, v[23:24], v[21:22] offset0:8 offset1:9
	s_wait_dscnt 0x0
	s_barrier_signal -1
	s_barrier_wait -1
	ds_load_b128 v[46:49], v90
	ds_load_b128 v[0:3], v28 offset:16432
	ds_load_b128 v[50:53], v90 offset:4112
	;; [unrolled: 1-line block ×3, first 2 shown]
	v_and_or_b32 v9, v27, 8, v32
	v_and_b32_e32 v8, 0xc0, v31
	v_lshlrev_b32_e32 v10, 2, v29
	v_lshlrev_b32_e32 v11, 2, v94
	ds_load_b128 v[20:23], v28 offset:17456
	ds_load_b128 v[54:57], v90 offset:512
	v_lshlrev_b32_e32 v9, 8, v9
	ds_load_b128 v[16:19], v28 offset:19520
	ds_load_b128 v[58:61], v90 offset:4624
	ds_load_b128 v[62:65], v90 offset:1024
	ds_load_b128 v[66:69], v90 offset:1536
	ds_load_b128 v[70:73], v90 offset:5136
	ds_load_b128 v[74:77], v90 offset:5648
	ds_load_b128 v[78:81], v90 offset:2048
	ds_load_b128 v[82:85], v90 offset:2560
	v_lshl_or_b32 v36, v98, 8, v11
	ds_load_b128 v[86:89], v90 offset:6160
	ds_load_b128 v[32:35], v90 offset:6672
	;; [unrolled: 1-line block ×4, first 2 shown]
	v_or3_b32 v37, v8, v9, v10
	ds_load_b128 v[24:27], v90 offset:7184
	ds_load_b128 v[8:11], v90 offset:7696
	s_wait_dscnt 0x0
	s_barrier_signal -1
	s_barrier_wait -1
	v_wmma_f32_16x16x16_fp8_bf8 v[38:45], v[46:47], v[0:1], 0
	s_delay_alu instid0(VALU_DEP_1) | instskip(NEXT) | instid1(VALU_DEP_1)
	v_wmma_f32_16x16x16_fp8_bf8 v[38:45], v[48:49], v[2:3], v[38:45]
	v_wmma_f32_16x16x16_fp8_bf8 v[38:45], v[50:51], v[4:5], v[38:45]
	s_delay_alu instid0(VALU_DEP_1)
	v_wmma_f32_16x16x16_fp8_bf8 v[38:45], v[52:53], v[6:7], v[38:45]
	ds_store_2addr_stride64_b32 v37, v38, v39 offset1:1
	ds_store_2addr_stride64_b32 v37, v40, v41 offset0:2 offset1:3
	ds_store_2addr_stride64_b32 v37, v42, v43 offset0:4 offset1:5
	;; [unrolled: 1-line block ×3, first 2 shown]
	s_wait_dscnt 0x0
	s_barrier_signal -1
	s_barrier_wait -1
	ds_load_b128 v[90:93], v36
	v_lshl_or_b32 v38, s22, 7, v94
	ds_load_b128 v[94:97], v36 offset:16
	v_lshl_or_b32 v39, s4, 8, v98
	s_lshl_b32 s4, s17, 5
	s_delay_alu instid0(VALU_DEP_1) | instskip(SKIP_1) | instid1(VALU_DEP_1)
	v_mad_co_u64_u32 v[98:99], null, v39, s17, v[38:39]
	v_wmma_f32_16x16x16_fp8_bf8 v[38:45], v[46:47], v[20:21], 0
	v_wmma_f32_16x16x16_fp8_bf8 v[38:45], v[48:49], v[22:23], v[38:45]
	s_delay_alu instid0(VALU_DEP_3)
	v_lshlrev_b32_e32 v99, 1, v98
	s_wait_dscnt 0x1
	v_cvt_f16_f32_e32 v46, v90
	v_cvt_f16_f32_e32 v48, v91
	;; [unrolled: 1-line block ×4, first 2 shown]
	s_wait_dscnt 0x0
	v_cvt_f16_f32_e32 v90, v94
	v_cvt_f16_f32_e32 v91, v96
	;; [unrolled: 1-line block ×4, first 2 shown]
	v_wmma_f32_16x16x16_fp8_bf8 v[38:45], v[50:51], v[16:17], v[38:45]
	v_pack_b32_f16 v47, v47, v49
	v_pack_b32_f16 v46, v46, v48
	;; [unrolled: 1-line block ×4, first 2 shown]
	v_wmma_f32_16x16x16_fp8_bf8 v[38:45], v[52:53], v[18:19], v[38:45]
	v_add_nc_u32_e32 v90, 64, v98
	buffer_store_b128 v[46:49], v99, s[0:3], null offen
	s_wait_dscnt 0x0
	s_barrier_signal -1
	s_barrier_wait -1
	ds_store_2addr_stride64_b32 v37, v38, v39 offset1:1
	ds_store_2addr_stride64_b32 v37, v40, v41 offset0:2 offset1:3
	ds_store_2addr_stride64_b32 v37, v42, v43 offset0:4 offset1:5
	;; [unrolled: 1-line block ×3, first 2 shown]
	s_wait_dscnt 0x0
	s_barrier_signal -1
	s_barrier_wait -1
	ds_load_b128 v[46:49], v36
	ds_load_b128 v[50:53], v36 offset:16
	v_wmma_f32_16x16x16_fp8_bf8 v[38:45], v[54:55], v[20:21], 0
	v_lshlrev_b32_e32 v91, 1, v90
	s_delay_alu instid0(VALU_DEP_2) | instskip(NEXT) | instid1(VALU_DEP_1)
	v_wmma_f32_16x16x16_fp8_bf8 v[38:45], v[56:57], v[22:23], v[38:45]
	v_wmma_f32_16x16x16_fp8_bf8 v[38:45], v[58:59], v[16:17], v[38:45]
	s_delay_alu instid0(VALU_DEP_1)
	v_wmma_f32_16x16x16_fp8_bf8 v[38:45], v[60:61], v[18:19], v[38:45]
	s_wait_dscnt 0x1
	v_cvt_f16_f32_e32 v46, v46
	v_cvt_f16_f32_e32 v92, v47
	;; [unrolled: 1-line block ×4, first 2 shown]
	s_wait_dscnt 0x0
	v_cvt_f16_f32_e32 v50, v50
	v_cvt_f16_f32_e32 v49, v52
	;; [unrolled: 1-line block ×4, first 2 shown]
	v_pack_b32_f16 v47, v47, v48
	v_pack_b32_f16 v46, v46, v92
	s_delay_alu instid0(VALU_DEP_4) | instskip(NEXT) | instid1(VALU_DEP_4)
	v_pack_b32_f16 v49, v49, v52
	v_pack_b32_f16 v48, v50, v51
	s_clause 0x1
	buffer_store_b64 v[46:47], v91, s[0:3], null offen
	buffer_store_b64 v[48:49], v99, s[0:3], null offen offset:136
	s_wait_dscnt 0x0
	s_barrier_signal -1
	s_barrier_wait -1
	ds_store_2addr_stride64_b32 v37, v38, v39 offset1:1
	ds_store_2addr_stride64_b32 v37, v40, v41 offset0:2 offset1:3
	ds_store_2addr_stride64_b32 v37, v42, v43 offset0:4 offset1:5
	;; [unrolled: 1-line block ×3, first 2 shown]
	s_wait_dscnt 0x0
	s_barrier_signal -1
	s_barrier_wait -1
	ds_load_b128 v[46:49], v36
	ds_load_b128 v[50:53], v36 offset:16
	v_wmma_f32_16x16x16_fp8_bf8 v[38:45], v[54:55], v[0:1], 0
	v_add_lshl_u32 v54, v90, s4, 1
	s_delay_alu instid0(VALU_DEP_2) | instskip(NEXT) | instid1(VALU_DEP_1)
	v_wmma_f32_16x16x16_fp8_bf8 v[38:45], v[56:57], v[2:3], v[38:45]
	v_wmma_f32_16x16x16_fp8_bf8 v[38:45], v[58:59], v[4:5], v[38:45]
	s_delay_alu instid0(VALU_DEP_1)
	v_wmma_f32_16x16x16_fp8_bf8 v[38:45], v[60:61], v[6:7], v[38:45]
	s_wait_dscnt 0x1
	v_cvt_f16_f32_e32 v46, v46
	v_cvt_f16_f32_e32 v55, v47
	;; [unrolled: 1-line block ×4, first 2 shown]
	s_wait_dscnt 0x0
	v_cvt_f16_f32_e32 v50, v50
	v_cvt_f16_f32_e32 v49, v52
	;; [unrolled: 1-line block ×4, first 2 shown]
	v_pack_b32_f16 v47, v47, v48
	v_pack_b32_f16 v46, v46, v55
	s_delay_alu instid0(VALU_DEP_4) | instskip(NEXT) | instid1(VALU_DEP_4)
	v_pack_b32_f16 v49, v49, v52
	v_pack_b32_f16 v48, v50, v51
	buffer_store_b128 v[46:49], v54, s[0:3], null offen
	s_wait_dscnt 0x0
	s_barrier_signal -1
	s_barrier_wait -1
	ds_store_2addr_stride64_b32 v37, v38, v39 offset1:1
	ds_store_2addr_stride64_b32 v37, v40, v41 offset0:2 offset1:3
	ds_store_2addr_stride64_b32 v37, v42, v43 offset0:4 offset1:5
	;; [unrolled: 1-line block ×3, first 2 shown]
	s_wait_dscnt 0x0
	s_barrier_signal -1
	s_barrier_wait -1
	ds_load_b128 v[46:49], v36
	ds_load_b128 v[50:53], v36 offset:16
	v_wmma_f32_16x16x16_fp8_bf8 v[38:45], v[62:63], v[0:1], 0
	v_add_nc_u32_e32 v54, s4, v98
	s_delay_alu instid0(VALU_DEP_2) | instskip(NEXT) | instid1(VALU_DEP_2)
	v_wmma_f32_16x16x16_fp8_bf8 v[38:45], v[64:65], v[2:3], v[38:45]
	v_lshlrev_b32_e32 v55, 1, v54
	v_add_nc_u32_e32 v54, s4, v54
	s_delay_alu instid0(VALU_DEP_3) | instskip(NEXT) | instid1(VALU_DEP_1)
	v_wmma_f32_16x16x16_fp8_bf8 v[38:45], v[70:71], v[4:5], v[38:45]
	v_wmma_f32_16x16x16_fp8_bf8 v[38:45], v[72:73], v[6:7], v[38:45]
	s_wait_dscnt 0x1
	v_cvt_f16_f32_e32 v46, v46
	v_cvt_f16_f32_e32 v56, v47
	;; [unrolled: 1-line block ×4, first 2 shown]
	s_wait_dscnt 0x0
	v_cvt_f16_f32_e32 v50, v50
	v_cvt_f16_f32_e32 v49, v52
	;; [unrolled: 1-line block ×4, first 2 shown]
	v_pack_b32_f16 v47, v47, v48
	v_pack_b32_f16 v46, v46, v56
	s_delay_alu instid0(VALU_DEP_4) | instskip(NEXT) | instid1(VALU_DEP_4)
	v_pack_b32_f16 v49, v49, v52
	v_pack_b32_f16 v48, v50, v51
	buffer_store_b128 v[46:49], v55, s[0:3], null offen
	s_wait_dscnt 0x0
	s_barrier_signal -1
	s_barrier_wait -1
	ds_store_2addr_stride64_b32 v37, v38, v39 offset1:1
	ds_store_2addr_stride64_b32 v37, v40, v41 offset0:2 offset1:3
	ds_store_2addr_stride64_b32 v37, v42, v43 offset0:4 offset1:5
	;; [unrolled: 1-line block ×3, first 2 shown]
	s_wait_dscnt 0x0
	s_barrier_signal -1
	s_barrier_wait -1
	ds_load_b128 v[46:49], v36
	ds_load_b128 v[50:53], v36 offset:16
	v_wmma_f32_16x16x16_fp8_bf8 v[38:45], v[62:63], v[20:21], 0
	v_lshlrev_b32_e32 v55, 1, v54
	s_delay_alu instid0(VALU_DEP_2) | instskip(NEXT) | instid1(VALU_DEP_1)
	v_wmma_f32_16x16x16_fp8_bf8 v[38:45], v[64:65], v[22:23], v[38:45]
	v_wmma_f32_16x16x16_fp8_bf8 v[38:45], v[70:71], v[16:17], v[38:45]
	s_delay_alu instid0(VALU_DEP_1)
	v_wmma_f32_16x16x16_fp8_bf8 v[38:45], v[72:73], v[18:19], v[38:45]
	s_wait_dscnt 0x1
	v_cvt_f16_f32_e32 v46, v46
	v_cvt_f16_f32_e32 v56, v47
	;; [unrolled: 1-line block ×4, first 2 shown]
	s_wait_dscnt 0x0
	v_cvt_f16_f32_e32 v50, v50
	v_cvt_f16_f32_e32 v49, v52
	;; [unrolled: 1-line block ×4, first 2 shown]
	v_pack_b32_f16 v47, v47, v48
	v_pack_b32_f16 v46, v46, v56
	v_add_nc_u32_e32 v56, 64, v54
	v_pack_b32_f16 v49, v49, v52
	v_pack_b32_f16 v48, v50, v51
	v_add_nc_u32_e32 v54, s4, v54
	s_delay_alu instid0(VALU_DEP_4)
	v_lshlrev_b32_e32 v57, 1, v56
	buffer_store_b128 v[46:49], v55, s[0:3], null offen
	s_wait_dscnt 0x0
	s_barrier_signal -1
	s_barrier_wait -1
	ds_store_2addr_stride64_b32 v37, v38, v39 offset1:1
	ds_store_2addr_stride64_b32 v37, v40, v41 offset0:2 offset1:3
	ds_store_2addr_stride64_b32 v37, v42, v43 offset0:4 offset1:5
	;; [unrolled: 1-line block ×3, first 2 shown]
	s_wait_dscnt 0x0
	s_barrier_signal -1
	s_barrier_wait -1
	ds_load_b128 v[46:49], v36
	ds_load_b128 v[50:53], v36 offset:16
	v_wmma_f32_16x16x16_fp8_bf8 v[38:45], v[66:67], v[20:21], 0
	s_delay_alu instid0(VALU_DEP_1) | instskip(NEXT) | instid1(VALU_DEP_1)
	v_wmma_f32_16x16x16_fp8_bf8 v[38:45], v[68:69], v[22:23], v[38:45]
	v_wmma_f32_16x16x16_fp8_bf8 v[38:45], v[74:75], v[16:17], v[38:45]
	s_delay_alu instid0(VALU_DEP_1)
	v_wmma_f32_16x16x16_fp8_bf8 v[38:45], v[76:77], v[18:19], v[38:45]
	s_wait_dscnt 0x1
	v_cvt_f16_f32_e32 v46, v46
	v_cvt_f16_f32_e32 v58, v47
	v_cvt_f16_f32_e32 v47, v48
	v_cvt_f16_f32_e32 v48, v49
	s_wait_dscnt 0x0
	v_cvt_f16_f32_e32 v50, v50
	v_cvt_f16_f32_e32 v49, v52
	;; [unrolled: 1-line block ×4, first 2 shown]
	v_pack_b32_f16 v47, v47, v48
	v_pack_b32_f16 v46, v46, v58
	s_delay_alu instid0(VALU_DEP_4) | instskip(NEXT) | instid1(VALU_DEP_4)
	v_pack_b32_f16 v49, v49, v52
	v_pack_b32_f16 v48, v50, v51
	s_clause 0x1
	buffer_store_b64 v[46:47], v57, s[0:3], null offen
	buffer_store_b64 v[48:49], v55, s[0:3], null offen offset:136
	s_wait_dscnt 0x0
	s_barrier_signal -1
	s_barrier_wait -1
	ds_store_2addr_stride64_b32 v37, v38, v39 offset1:1
	ds_store_2addr_stride64_b32 v37, v40, v41 offset0:2 offset1:3
	ds_store_2addr_stride64_b32 v37, v42, v43 offset0:4 offset1:5
	;; [unrolled: 1-line block ×3, first 2 shown]
	s_wait_dscnt 0x0
	s_barrier_signal -1
	s_barrier_wait -1
	ds_load_b128 v[46:49], v36
	ds_load_b128 v[50:53], v36 offset:16
	v_wmma_f32_16x16x16_fp8_bf8 v[38:45], v[66:67], v[0:1], 0
	v_add_lshl_u32 v55, v56, s4, 1
	s_delay_alu instid0(VALU_DEP_2) | instskip(NEXT) | instid1(VALU_DEP_1)
	v_wmma_f32_16x16x16_fp8_bf8 v[38:45], v[68:69], v[2:3], v[38:45]
	v_wmma_f32_16x16x16_fp8_bf8 v[38:45], v[74:75], v[4:5], v[38:45]
	s_delay_alu instid0(VALU_DEP_1)
	v_wmma_f32_16x16x16_fp8_bf8 v[38:45], v[76:77], v[6:7], v[38:45]
	s_wait_dscnt 0x1
	v_cvt_f16_f32_e32 v46, v46
	v_cvt_f16_f32_e32 v56, v47
	;; [unrolled: 1-line block ×4, first 2 shown]
	s_wait_dscnt 0x0
	v_cvt_f16_f32_e32 v50, v50
	v_cvt_f16_f32_e32 v49, v52
	;; [unrolled: 1-line block ×4, first 2 shown]
	v_pack_b32_f16 v47, v47, v48
	v_pack_b32_f16 v46, v46, v56
	s_delay_alu instid0(VALU_DEP_4) | instskip(NEXT) | instid1(VALU_DEP_4)
	v_pack_b32_f16 v49, v49, v52
	v_pack_b32_f16 v48, v50, v51
	buffer_store_b128 v[46:49], v55, s[0:3], null offen
	s_wait_dscnt 0x0
	s_barrier_signal -1
	s_barrier_wait -1
	ds_store_2addr_stride64_b32 v37, v38, v39 offset1:1
	ds_store_2addr_stride64_b32 v37, v40, v41 offset0:2 offset1:3
	ds_store_2addr_stride64_b32 v37, v42, v43 offset0:4 offset1:5
	;; [unrolled: 1-line block ×3, first 2 shown]
	s_wait_dscnt 0x0
	s_barrier_signal -1
	s_barrier_wait -1
	ds_load_b128 v[46:49], v36
	ds_load_b128 v[50:53], v36 offset:16
	v_wmma_f32_16x16x16_fp8_bf8 v[38:45], v[78:79], v[0:1], 0
	v_lshlrev_b32_e32 v55, 1, v54
	v_add_nc_u32_e32 v54, s4, v54
	s_delay_alu instid0(VALU_DEP_3) | instskip(NEXT) | instid1(VALU_DEP_1)
	v_wmma_f32_16x16x16_fp8_bf8 v[38:45], v[80:81], v[2:3], v[38:45]
	v_wmma_f32_16x16x16_fp8_bf8 v[38:45], v[86:87], v[4:5], v[38:45]
	s_delay_alu instid0(VALU_DEP_1)
	v_wmma_f32_16x16x16_fp8_bf8 v[38:45], v[88:89], v[6:7], v[38:45]
	s_wait_dscnt 0x1
	v_cvt_f16_f32_e32 v46, v46
	v_cvt_f16_f32_e32 v56, v47
	;; [unrolled: 1-line block ×4, first 2 shown]
	s_wait_dscnt 0x0
	v_cvt_f16_f32_e32 v50, v50
	v_cvt_f16_f32_e32 v49, v52
	;; [unrolled: 1-line block ×4, first 2 shown]
	v_pack_b32_f16 v47, v47, v48
	v_pack_b32_f16 v46, v46, v56
	s_delay_alu instid0(VALU_DEP_4) | instskip(NEXT) | instid1(VALU_DEP_4)
	v_pack_b32_f16 v49, v49, v52
	v_pack_b32_f16 v48, v50, v51
	buffer_store_b128 v[46:49], v55, s[0:3], null offen
	s_wait_dscnt 0x0
	s_barrier_signal -1
	s_barrier_wait -1
	ds_store_2addr_stride64_b32 v37, v38, v39 offset1:1
	ds_store_2addr_stride64_b32 v37, v40, v41 offset0:2 offset1:3
	ds_store_2addr_stride64_b32 v37, v42, v43 offset0:4 offset1:5
	;; [unrolled: 1-line block ×3, first 2 shown]
	s_wait_dscnt 0x0
	s_barrier_signal -1
	s_barrier_wait -1
	ds_load_b128 v[46:49], v36
	ds_load_b128 v[50:53], v36 offset:16
	v_wmma_f32_16x16x16_fp8_bf8 v[38:45], v[78:79], v[20:21], 0
	v_lshlrev_b32_e32 v55, 1, v54
	s_delay_alu instid0(VALU_DEP_2) | instskip(NEXT) | instid1(VALU_DEP_1)
	v_wmma_f32_16x16x16_fp8_bf8 v[38:45], v[80:81], v[22:23], v[38:45]
	v_wmma_f32_16x16x16_fp8_bf8 v[38:45], v[86:87], v[16:17], v[38:45]
	s_delay_alu instid0(VALU_DEP_1)
	v_wmma_f32_16x16x16_fp8_bf8 v[38:45], v[88:89], v[18:19], v[38:45]
	s_wait_dscnt 0x1
	v_cvt_f16_f32_e32 v46, v46
	v_cvt_f16_f32_e32 v56, v47
	;; [unrolled: 1-line block ×4, first 2 shown]
	s_wait_dscnt 0x0
	v_cvt_f16_f32_e32 v50, v50
	v_cvt_f16_f32_e32 v49, v52
	;; [unrolled: 1-line block ×4, first 2 shown]
	v_pack_b32_f16 v47, v47, v48
	v_pack_b32_f16 v46, v46, v56
	v_add_nc_u32_e32 v56, 64, v54
	v_pack_b32_f16 v49, v49, v52
	v_pack_b32_f16 v48, v50, v51
	s_delay_alu instid0(VALU_DEP_3)
	v_lshlrev_b32_e32 v57, 1, v56
	buffer_store_b128 v[46:49], v55, s[0:3], null offen
	s_wait_dscnt 0x0
	s_barrier_signal -1
	s_barrier_wait -1
	ds_store_2addr_stride64_b32 v37, v38, v39 offset1:1
	ds_store_2addr_stride64_b32 v37, v40, v41 offset0:2 offset1:3
	ds_store_2addr_stride64_b32 v37, v42, v43 offset0:4 offset1:5
	;; [unrolled: 1-line block ×3, first 2 shown]
	s_wait_dscnt 0x0
	s_barrier_signal -1
	s_barrier_wait -1
	ds_load_b128 v[46:49], v36
	ds_load_b128 v[50:53], v36 offset:16
	v_wmma_f32_16x16x16_fp8_bf8 v[38:45], v[82:83], v[20:21], 0
	s_delay_alu instid0(VALU_DEP_1) | instskip(NEXT) | instid1(VALU_DEP_1)
	v_wmma_f32_16x16x16_fp8_bf8 v[38:45], v[84:85], v[22:23], v[38:45]
	v_wmma_f32_16x16x16_fp8_bf8 v[38:45], v[32:33], v[16:17], v[38:45]
	s_delay_alu instid0(VALU_DEP_1)
	v_wmma_f32_16x16x16_fp8_bf8 v[38:45], v[34:35], v[18:19], v[38:45]
	s_wait_dscnt 0x1
	v_cvt_f16_f32_e32 v46, v46
	v_cvt_f16_f32_e32 v58, v47
	;; [unrolled: 1-line block ×4, first 2 shown]
	s_wait_dscnt 0x0
	v_cvt_f16_f32_e32 v50, v50
	v_cvt_f16_f32_e32 v49, v52
	;; [unrolled: 1-line block ×4, first 2 shown]
	v_pack_b32_f16 v47, v47, v48
	v_pack_b32_f16 v46, v46, v58
	s_delay_alu instid0(VALU_DEP_4) | instskip(NEXT) | instid1(VALU_DEP_4)
	v_pack_b32_f16 v49, v49, v52
	v_pack_b32_f16 v48, v50, v51
	s_clause 0x1
	buffer_store_b64 v[46:47], v57, s[0:3], null offen
	buffer_store_b64 v[48:49], v55, s[0:3], null offen offset:136
	s_wait_dscnt 0x0
	s_barrier_signal -1
	s_barrier_wait -1
	ds_store_2addr_stride64_b32 v37, v38, v39 offset1:1
	ds_store_2addr_stride64_b32 v37, v40, v41 offset0:2 offset1:3
	ds_store_2addr_stride64_b32 v37, v42, v43 offset0:4 offset1:5
	;; [unrolled: 1-line block ×3, first 2 shown]
	s_wait_dscnt 0x0
	s_barrier_signal -1
	s_barrier_wait -1
	ds_load_b128 v[46:49], v36
	ds_load_b128 v[50:53], v36 offset:16
	v_wmma_f32_16x16x16_fp8_bf8 v[38:45], v[82:83], v[0:1], 0
	v_add_lshl_u32 v55, v56, s4, 1
	s_delay_alu instid0(VALU_DEP_2) | instskip(NEXT) | instid1(VALU_DEP_1)
	v_wmma_f32_16x16x16_fp8_bf8 v[38:45], v[84:85], v[2:3], v[38:45]
	v_wmma_f32_16x16x16_fp8_bf8 v[38:45], v[32:33], v[4:5], v[38:45]
	s_delay_alu instid0(VALU_DEP_1)
	v_wmma_f32_16x16x16_fp8_bf8 v[38:45], v[34:35], v[6:7], v[38:45]
	s_wait_dscnt 0x1
	v_cvt_f16_f32_e32 v46, v46
	v_cvt_f16_f32_e32 v56, v47
	;; [unrolled: 1-line block ×4, first 2 shown]
	s_wait_dscnt 0x0
	v_cvt_f16_f32_e32 v50, v50
	v_cvt_f16_f32_e32 v49, v52
	;; [unrolled: 1-line block ×4, first 2 shown]
	v_pack_b32_f16 v47, v47, v48
	v_pack_b32_f16 v46, v46, v56
	s_delay_alu instid0(VALU_DEP_4) | instskip(NEXT) | instid1(VALU_DEP_4)
	v_pack_b32_f16 v49, v49, v52
	v_pack_b32_f16 v48, v50, v51
	v_add_nc_u32_e32 v50, s4, v54
	buffer_store_b128 v[46:49], v55, s[0:3], null offen
	s_wait_dscnt 0x0
	s_barrier_signal -1
	s_barrier_wait -1
	ds_store_2addr_stride64_b32 v37, v38, v39 offset1:1
	ds_store_2addr_stride64_b32 v37, v40, v41 offset0:2 offset1:3
	ds_store_2addr_stride64_b32 v37, v42, v43 offset0:4 offset1:5
	;; [unrolled: 1-line block ×3, first 2 shown]
	s_wait_dscnt 0x0
	s_barrier_signal -1
	s_barrier_wait -1
	ds_load_b128 v[32:35], v36
	ds_load_b128 v[46:49], v36 offset:16
	v_wmma_f32_16x16x16_fp8_bf8 v[38:45], v[28:29], v[0:1], 0
	v_lshlrev_b32_e32 v51, 1, v50
	v_add_nc_u32_e32 v50, s4, v50
	s_delay_alu instid0(VALU_DEP_3) | instskip(NEXT) | instid1(VALU_DEP_1)
	v_wmma_f32_16x16x16_fp8_bf8 v[38:45], v[30:31], v[2:3], v[38:45]
	v_wmma_f32_16x16x16_fp8_bf8 v[38:45], v[24:25], v[4:5], v[38:45]
	s_delay_alu instid0(VALU_DEP_1)
	v_wmma_f32_16x16x16_fp8_bf8 v[38:45], v[26:27], v[6:7], v[38:45]
	s_wait_dscnt 0x1
	v_cvt_f16_f32_e32 v32, v32
	v_cvt_f16_f32_e32 v52, v33
	;; [unrolled: 1-line block ×4, first 2 shown]
	s_wait_dscnt 0x0
	v_cvt_f16_f32_e32 v46, v46
	v_cvt_f16_f32_e32 v35, v48
	;; [unrolled: 1-line block ×4, first 2 shown]
	v_pack_b32_f16 v33, v33, v34
	v_pack_b32_f16 v32, v32, v52
	s_delay_alu instid0(VALU_DEP_4) | instskip(NEXT) | instid1(VALU_DEP_4)
	v_pack_b32_f16 v35, v35, v48
	v_pack_b32_f16 v34, v46, v47
	buffer_store_b128 v[32:35], v51, s[0:3], null offen
	s_wait_dscnt 0x0
	s_barrier_signal -1
	s_barrier_wait -1
	ds_store_2addr_stride64_b32 v37, v38, v39 offset1:1
	ds_store_2addr_stride64_b32 v37, v40, v41 offset0:2 offset1:3
	ds_store_2addr_stride64_b32 v37, v42, v43 offset0:4 offset1:5
	;; [unrolled: 1-line block ×3, first 2 shown]
	s_wait_dscnt 0x0
	s_barrier_signal -1
	s_barrier_wait -1
	ds_load_b128 v[32:35], v36
	ds_load_b128 v[46:49], v36 offset:16
	v_wmma_f32_16x16x16_fp8_bf8 v[38:45], v[28:29], v[20:21], 0
	v_lshlrev_b32_e32 v51, 1, v50
	s_delay_alu instid0(VALU_DEP_2) | instskip(NEXT) | instid1(VALU_DEP_1)
	v_wmma_f32_16x16x16_fp8_bf8 v[38:45], v[30:31], v[22:23], v[38:45]
	v_wmma_f32_16x16x16_fp8_bf8 v[38:45], v[24:25], v[16:17], v[38:45]
	s_delay_alu instid0(VALU_DEP_1)
	v_wmma_f32_16x16x16_fp8_bf8 v[38:45], v[26:27], v[18:19], v[38:45]
	s_wait_dscnt 0x1
	v_cvt_f16_f32_e32 v28, v32
	v_cvt_f16_f32_e32 v30, v33
	v_cvt_f16_f32_e32 v29, v34
	v_cvt_f16_f32_e32 v31, v35
	s_wait_dscnt 0x0
	v_cvt_f16_f32_e32 v32, v46
	v_cvt_f16_f32_e32 v33, v48
	;; [unrolled: 1-line block ×4, first 2 shown]
	v_pack_b32_f16 v29, v29, v31
	v_pack_b32_f16 v28, v28, v30
	s_delay_alu instid0(VALU_DEP_4) | instskip(NEXT) | instid1(VALU_DEP_4)
	v_pack_b32_f16 v31, v33, v34
	v_pack_b32_f16 v30, v32, v35
	buffer_store_b128 v[28:31], v51, s[0:3], null offen
	s_wait_dscnt 0x0
	s_barrier_signal -1
	s_barrier_wait -1
	ds_store_2addr_stride64_b32 v37, v38, v39 offset1:1
	ds_store_2addr_stride64_b32 v37, v40, v41 offset0:2 offset1:3
	ds_store_2addr_stride64_b32 v37, v42, v43 offset0:4 offset1:5
	;; [unrolled: 1-line block ×3, first 2 shown]
	s_wait_dscnt 0x0
	s_barrier_signal -1
	s_barrier_wait -1
	ds_load_b128 v[32:35], v36
	ds_load_b128 v[38:41], v36 offset:16
	v_wmma_f32_16x16x16_fp8_bf8 v[24:31], v[12:13], v[20:21], 0
	v_add_nc_u32_e32 v42, 64, v50
	s_delay_alu instid0(VALU_DEP_2) | instskip(NEXT) | instid1(VALU_DEP_2)
	v_wmma_f32_16x16x16_fp8_bf8 v[24:31], v[14:15], v[22:23], v[24:31]
	v_lshlrev_b32_e32 v43, 1, v42
	s_delay_alu instid0(VALU_DEP_2) | instskip(NEXT) | instid1(VALU_DEP_1)
	v_wmma_f32_16x16x16_fp8_bf8 v[24:31], v[8:9], v[16:17], v[24:31]
	v_wmma_f32_16x16x16_fp8_bf8 v[24:31], v[10:11], v[18:19], v[24:31]
	s_wait_dscnt 0x1
	v_cvt_f16_f32_e32 v20, v32
	v_cvt_f16_f32_e32 v21, v33
	;; [unrolled: 1-line block ×4, first 2 shown]
	s_wait_dscnt 0x0
	v_cvt_f16_f32_e32 v32, v38
	v_cvt_f16_f32_e32 v33, v40
	;; [unrolled: 1-line block ×4, first 2 shown]
	v_pack_b32_f16 v17, v22, v23
	v_pack_b32_f16 v16, v20, v21
	s_delay_alu instid0(VALU_DEP_4) | instskip(NEXT) | instid1(VALU_DEP_4)
	v_pack_b32_f16 v21, v33, v34
	v_pack_b32_f16 v20, v32, v35
	s_clause 0x1
	buffer_store_b64 v[16:17], v43, s[0:3], null offen
	buffer_store_b64 v[20:21], v51, s[0:3], null offen offset:136
	s_wait_dscnt 0x0
	s_barrier_signal -1
	s_barrier_wait -1
	ds_store_2addr_stride64_b32 v37, v24, v25 offset1:1
	ds_store_2addr_stride64_b32 v37, v26, v27 offset0:2 offset1:3
	ds_store_2addr_stride64_b32 v37, v28, v29 offset0:4 offset1:5
	;; [unrolled: 1-line block ×3, first 2 shown]
	s_wait_dscnt 0x0
	s_barrier_signal -1
	s_barrier_wait -1
	ds_load_b128 v[24:27], v36
	ds_load_b128 v[28:31], v36 offset:16
	v_wmma_f32_16x16x16_fp8_bf8 v[16:23], v[12:13], v[0:1], 0
	v_add_lshl_u32 v12, v42, s4, 1
	s_delay_alu instid0(VALU_DEP_2) | instskip(NEXT) | instid1(VALU_DEP_1)
	v_wmma_f32_16x16x16_fp8_bf8 v[16:23], v[14:15], v[2:3], v[16:23]
	v_wmma_f32_16x16x16_fp8_bf8 v[16:23], v[8:9], v[4:5], v[16:23]
	s_delay_alu instid0(VALU_DEP_1)
	v_wmma_f32_16x16x16_fp8_bf8 v[16:23], v[10:11], v[6:7], v[16:23]
	s_wait_dscnt 0x1
	v_cvt_f16_f32_e32 v0, v24
	v_cvt_f16_f32_e32 v2, v25
	;; [unrolled: 1-line block ×4, first 2 shown]
	s_wait_dscnt 0x0
	v_cvt_f16_f32_e32 v13, v28
	v_cvt_f16_f32_e32 v14, v30
	;; [unrolled: 1-line block ×4, first 2 shown]
	v_pack_b32_f16 v1, v1, v3
	v_pack_b32_f16 v0, v0, v2
	s_delay_alu instid0(VALU_DEP_4) | instskip(NEXT) | instid1(VALU_DEP_4)
	v_pack_b32_f16 v3, v14, v15
	v_pack_b32_f16 v2, v13, v24
	buffer_store_b128 v[0:3], v12, s[0:3], null offen
	s_wait_dscnt 0x0
	s_barrier_signal -1
	s_barrier_wait -1
	ds_store_2addr_stride64_b32 v37, v16, v17 offset1:1
	ds_store_2addr_stride64_b32 v37, v18, v19 offset0:2 offset1:3
	ds_store_2addr_stride64_b32 v37, v20, v21 offset0:4 offset1:5
	;; [unrolled: 1-line block ×3, first 2 shown]
	s_wait_dscnt 0x0
	s_barrier_signal -1
	s_barrier_wait -1
	ds_load_b128 v[0:3], v36
	ds_load_b128 v[4:7], v36 offset:16
	s_wait_dscnt 0x1
	v_cvt_f16_f32_e32 v0, v0
	v_cvt_f16_f32_e32 v8, v1
	;; [unrolled: 1-line block ×4, first 2 shown]
	s_wait_dscnt 0x0
	v_cvt_f16_f32_e32 v4, v4
	v_cvt_f16_f32_e32 v3, v6
	;; [unrolled: 1-line block ×4, first 2 shown]
	v_add_lshl_u32 v7, v50, s4, 1
	v_pack_b32_f16 v1, v1, v2
	v_pack_b32_f16 v0, v0, v8
	;; [unrolled: 1-line block ×4, first 2 shown]
	buffer_store_b128 v[0:3], v7, s[0:3], null offen
	s_nop 0
	s_sendmsg sendmsg(MSG_DEALLOC_VGPRS)
	s_endpgm
	.section	.rodata,"a",@progbits
	.p2align	6, 0x0
	.amdhsa_kernel _ZN2ck27kernel_gemm_xdl_cshuffle_v1INS_43GridwiseGemm_k0mk1_k0nk1_mn_xdl_cshuffle_v1INS_13tensor_layout4gemm8RowMajorENS3_11ColumnMajorES4_NS_9f8_fnuz_tENS_10bf8_fnuz_tEffDF16_NS_16tensor_operation12element_wise11PassThroughESA_SA_LNS8_6device18GemmSpecializationE0ELNS_25InMemoryDataOperationEnumE0ELi1ELi256ELi256ELi128ELi64ELi16ELi16ELi16ELi16ELi8ELi2ENS_8SequenceIJLi4ELi64ELi1EEEENSE_IJLi1ELi0ELi2EEEESG_Li2ELi16ELi16ELb0ELi1ESF_SG_SG_Li2ELi8ELi8ELb0ELi1ELi1ELi1ENSE_IJLi1ELi32ELi1ELi8EEEELi4ELNS_13LoopSchedulerE0ELNS_15PipelineVersionE0ES6_S7_EELb0EEEvNT_8ArgumentE
		.amdhsa_group_segment_fixed_size 24672
		.amdhsa_private_segment_fixed_size 0
		.amdhsa_kernarg_size 96
		.amdhsa_user_sgpr_count 2
		.amdhsa_user_sgpr_dispatch_ptr 0
		.amdhsa_user_sgpr_queue_ptr 0
		.amdhsa_user_sgpr_kernarg_segment_ptr 1
		.amdhsa_user_sgpr_dispatch_id 0
		.amdhsa_user_sgpr_private_segment_size 0
		.amdhsa_wavefront_size32 1
		.amdhsa_uses_dynamic_stack 0
		.amdhsa_enable_private_segment 0
		.amdhsa_system_sgpr_workgroup_id_x 1
		.amdhsa_system_sgpr_workgroup_id_y 0
		.amdhsa_system_sgpr_workgroup_id_z 0
		.amdhsa_system_sgpr_workgroup_info 0
		.amdhsa_system_vgpr_workitem_id 0
		.amdhsa_next_free_vgpr 121
		.amdhsa_next_free_sgpr 28
		.amdhsa_reserve_vcc 0
		.amdhsa_float_round_mode_32 0
		.amdhsa_float_round_mode_16_64 0
		.amdhsa_float_denorm_mode_32 3
		.amdhsa_float_denorm_mode_16_64 3
		.amdhsa_fp16_overflow 0
		.amdhsa_workgroup_processor_mode 1
		.amdhsa_memory_ordered 1
		.amdhsa_forward_progress 1
		.amdhsa_inst_pref_size 38
		.amdhsa_round_robin_scheduling 0
		.amdhsa_exception_fp_ieee_invalid_op 0
		.amdhsa_exception_fp_denorm_src 0
		.amdhsa_exception_fp_ieee_div_zero 0
		.amdhsa_exception_fp_ieee_overflow 0
		.amdhsa_exception_fp_ieee_underflow 0
		.amdhsa_exception_fp_ieee_inexact 0
		.amdhsa_exception_int_div_zero 0
	.end_amdhsa_kernel
	.section	.text._ZN2ck27kernel_gemm_xdl_cshuffle_v1INS_43GridwiseGemm_k0mk1_k0nk1_mn_xdl_cshuffle_v1INS_13tensor_layout4gemm8RowMajorENS3_11ColumnMajorES4_NS_9f8_fnuz_tENS_10bf8_fnuz_tEffDF16_NS_16tensor_operation12element_wise11PassThroughESA_SA_LNS8_6device18GemmSpecializationE0ELNS_25InMemoryDataOperationEnumE0ELi1ELi256ELi256ELi128ELi64ELi16ELi16ELi16ELi16ELi8ELi2ENS_8SequenceIJLi4ELi64ELi1EEEENSE_IJLi1ELi0ELi2EEEESG_Li2ELi16ELi16ELb0ELi1ESF_SG_SG_Li2ELi8ELi8ELb0ELi1ELi1ELi1ENSE_IJLi1ELi32ELi1ELi8EEEELi4ELNS_13LoopSchedulerE0ELNS_15PipelineVersionE0ES6_S7_EELb0EEEvNT_8ArgumentE,"axG",@progbits,_ZN2ck27kernel_gemm_xdl_cshuffle_v1INS_43GridwiseGemm_k0mk1_k0nk1_mn_xdl_cshuffle_v1INS_13tensor_layout4gemm8RowMajorENS3_11ColumnMajorES4_NS_9f8_fnuz_tENS_10bf8_fnuz_tEffDF16_NS_16tensor_operation12element_wise11PassThroughESA_SA_LNS8_6device18GemmSpecializationE0ELNS_25InMemoryDataOperationEnumE0ELi1ELi256ELi256ELi128ELi64ELi16ELi16ELi16ELi16ELi8ELi2ENS_8SequenceIJLi4ELi64ELi1EEEENSE_IJLi1ELi0ELi2EEEESG_Li2ELi16ELi16ELb0ELi1ESF_SG_SG_Li2ELi8ELi8ELb0ELi1ELi1ELi1ENSE_IJLi1ELi32ELi1ELi8EEEELi4ELNS_13LoopSchedulerE0ELNS_15PipelineVersionE0ES6_S7_EELb0EEEvNT_8ArgumentE,comdat
.Lfunc_end4:
	.size	_ZN2ck27kernel_gemm_xdl_cshuffle_v1INS_43GridwiseGemm_k0mk1_k0nk1_mn_xdl_cshuffle_v1INS_13tensor_layout4gemm8RowMajorENS3_11ColumnMajorES4_NS_9f8_fnuz_tENS_10bf8_fnuz_tEffDF16_NS_16tensor_operation12element_wise11PassThroughESA_SA_LNS8_6device18GemmSpecializationE0ELNS_25InMemoryDataOperationEnumE0ELi1ELi256ELi256ELi128ELi64ELi16ELi16ELi16ELi16ELi8ELi2ENS_8SequenceIJLi4ELi64ELi1EEEENSE_IJLi1ELi0ELi2EEEESG_Li2ELi16ELi16ELb0ELi1ESF_SG_SG_Li2ELi8ELi8ELb0ELi1ELi1ELi1ENSE_IJLi1ELi32ELi1ELi8EEEELi4ELNS_13LoopSchedulerE0ELNS_15PipelineVersionE0ES6_S7_EELb0EEEvNT_8ArgumentE, .Lfunc_end4-_ZN2ck27kernel_gemm_xdl_cshuffle_v1INS_43GridwiseGemm_k0mk1_k0nk1_mn_xdl_cshuffle_v1INS_13tensor_layout4gemm8RowMajorENS3_11ColumnMajorES4_NS_9f8_fnuz_tENS_10bf8_fnuz_tEffDF16_NS_16tensor_operation12element_wise11PassThroughESA_SA_LNS8_6device18GemmSpecializationE0ELNS_25InMemoryDataOperationEnumE0ELi1ELi256ELi256ELi128ELi64ELi16ELi16ELi16ELi16ELi8ELi2ENS_8SequenceIJLi4ELi64ELi1EEEENSE_IJLi1ELi0ELi2EEEESG_Li2ELi16ELi16ELb0ELi1ESF_SG_SG_Li2ELi8ELi8ELb0ELi1ELi1ELi1ENSE_IJLi1ELi32ELi1ELi8EEEELi4ELNS_13LoopSchedulerE0ELNS_15PipelineVersionE0ES6_S7_EELb0EEEvNT_8ArgumentE
                                        ; -- End function
	.set _ZN2ck27kernel_gemm_xdl_cshuffle_v1INS_43GridwiseGemm_k0mk1_k0nk1_mn_xdl_cshuffle_v1INS_13tensor_layout4gemm8RowMajorENS3_11ColumnMajorES4_NS_9f8_fnuz_tENS_10bf8_fnuz_tEffDF16_NS_16tensor_operation12element_wise11PassThroughESA_SA_LNS8_6device18GemmSpecializationE0ELNS_25InMemoryDataOperationEnumE0ELi1ELi256ELi256ELi128ELi64ELi16ELi16ELi16ELi16ELi8ELi2ENS_8SequenceIJLi4ELi64ELi1EEEENSE_IJLi1ELi0ELi2EEEESG_Li2ELi16ELi16ELb0ELi1ESF_SG_SG_Li2ELi8ELi8ELb0ELi1ELi1ELi1ENSE_IJLi1ELi32ELi1ELi8EEEELi4ELNS_13LoopSchedulerE0ELNS_15PipelineVersionE0ES6_S7_EELb0EEEvNT_8ArgumentE.num_vgpr, 100
	.set _ZN2ck27kernel_gemm_xdl_cshuffle_v1INS_43GridwiseGemm_k0mk1_k0nk1_mn_xdl_cshuffle_v1INS_13tensor_layout4gemm8RowMajorENS3_11ColumnMajorES4_NS_9f8_fnuz_tENS_10bf8_fnuz_tEffDF16_NS_16tensor_operation12element_wise11PassThroughESA_SA_LNS8_6device18GemmSpecializationE0ELNS_25InMemoryDataOperationEnumE0ELi1ELi256ELi256ELi128ELi64ELi16ELi16ELi16ELi16ELi8ELi2ENS_8SequenceIJLi4ELi64ELi1EEEENSE_IJLi1ELi0ELi2EEEESG_Li2ELi16ELi16ELb0ELi1ESF_SG_SG_Li2ELi8ELi8ELb0ELi1ELi1ELi1ENSE_IJLi1ELi32ELi1ELi8EEEELi4ELNS_13LoopSchedulerE0ELNS_15PipelineVersionE0ES6_S7_EELb0EEEvNT_8ArgumentE.num_agpr, 0
	.set _ZN2ck27kernel_gemm_xdl_cshuffle_v1INS_43GridwiseGemm_k0mk1_k0nk1_mn_xdl_cshuffle_v1INS_13tensor_layout4gemm8RowMajorENS3_11ColumnMajorES4_NS_9f8_fnuz_tENS_10bf8_fnuz_tEffDF16_NS_16tensor_operation12element_wise11PassThroughESA_SA_LNS8_6device18GemmSpecializationE0ELNS_25InMemoryDataOperationEnumE0ELi1ELi256ELi256ELi128ELi64ELi16ELi16ELi16ELi16ELi8ELi2ENS_8SequenceIJLi4ELi64ELi1EEEENSE_IJLi1ELi0ELi2EEEESG_Li2ELi16ELi16ELb0ELi1ESF_SG_SG_Li2ELi8ELi8ELb0ELi1ELi1ELi1ENSE_IJLi1ELi32ELi1ELi8EEEELi4ELNS_13LoopSchedulerE0ELNS_15PipelineVersionE0ES6_S7_EELb0EEEvNT_8ArgumentE.numbered_sgpr, 28
	.set _ZN2ck27kernel_gemm_xdl_cshuffle_v1INS_43GridwiseGemm_k0mk1_k0nk1_mn_xdl_cshuffle_v1INS_13tensor_layout4gemm8RowMajorENS3_11ColumnMajorES4_NS_9f8_fnuz_tENS_10bf8_fnuz_tEffDF16_NS_16tensor_operation12element_wise11PassThroughESA_SA_LNS8_6device18GemmSpecializationE0ELNS_25InMemoryDataOperationEnumE0ELi1ELi256ELi256ELi128ELi64ELi16ELi16ELi16ELi16ELi8ELi2ENS_8SequenceIJLi4ELi64ELi1EEEENSE_IJLi1ELi0ELi2EEEESG_Li2ELi16ELi16ELb0ELi1ESF_SG_SG_Li2ELi8ELi8ELb0ELi1ELi1ELi1ENSE_IJLi1ELi32ELi1ELi8EEEELi4ELNS_13LoopSchedulerE0ELNS_15PipelineVersionE0ES6_S7_EELb0EEEvNT_8ArgumentE.num_named_barrier, 0
	.set _ZN2ck27kernel_gemm_xdl_cshuffle_v1INS_43GridwiseGemm_k0mk1_k0nk1_mn_xdl_cshuffle_v1INS_13tensor_layout4gemm8RowMajorENS3_11ColumnMajorES4_NS_9f8_fnuz_tENS_10bf8_fnuz_tEffDF16_NS_16tensor_operation12element_wise11PassThroughESA_SA_LNS8_6device18GemmSpecializationE0ELNS_25InMemoryDataOperationEnumE0ELi1ELi256ELi256ELi128ELi64ELi16ELi16ELi16ELi16ELi8ELi2ENS_8SequenceIJLi4ELi64ELi1EEEENSE_IJLi1ELi0ELi2EEEESG_Li2ELi16ELi16ELb0ELi1ESF_SG_SG_Li2ELi8ELi8ELb0ELi1ELi1ELi1ENSE_IJLi1ELi32ELi1ELi8EEEELi4ELNS_13LoopSchedulerE0ELNS_15PipelineVersionE0ES6_S7_EELb0EEEvNT_8ArgumentE.private_seg_size, 0
	.set _ZN2ck27kernel_gemm_xdl_cshuffle_v1INS_43GridwiseGemm_k0mk1_k0nk1_mn_xdl_cshuffle_v1INS_13tensor_layout4gemm8RowMajorENS3_11ColumnMajorES4_NS_9f8_fnuz_tENS_10bf8_fnuz_tEffDF16_NS_16tensor_operation12element_wise11PassThroughESA_SA_LNS8_6device18GemmSpecializationE0ELNS_25InMemoryDataOperationEnumE0ELi1ELi256ELi256ELi128ELi64ELi16ELi16ELi16ELi16ELi8ELi2ENS_8SequenceIJLi4ELi64ELi1EEEENSE_IJLi1ELi0ELi2EEEESG_Li2ELi16ELi16ELb0ELi1ESF_SG_SG_Li2ELi8ELi8ELb0ELi1ELi1ELi1ENSE_IJLi1ELi32ELi1ELi8EEEELi4ELNS_13LoopSchedulerE0ELNS_15PipelineVersionE0ES6_S7_EELb0EEEvNT_8ArgumentE.uses_vcc, 0
	.set _ZN2ck27kernel_gemm_xdl_cshuffle_v1INS_43GridwiseGemm_k0mk1_k0nk1_mn_xdl_cshuffle_v1INS_13tensor_layout4gemm8RowMajorENS3_11ColumnMajorES4_NS_9f8_fnuz_tENS_10bf8_fnuz_tEffDF16_NS_16tensor_operation12element_wise11PassThroughESA_SA_LNS8_6device18GemmSpecializationE0ELNS_25InMemoryDataOperationEnumE0ELi1ELi256ELi256ELi128ELi64ELi16ELi16ELi16ELi16ELi8ELi2ENS_8SequenceIJLi4ELi64ELi1EEEENSE_IJLi1ELi0ELi2EEEESG_Li2ELi16ELi16ELb0ELi1ESF_SG_SG_Li2ELi8ELi8ELb0ELi1ELi1ELi1ENSE_IJLi1ELi32ELi1ELi8EEEELi4ELNS_13LoopSchedulerE0ELNS_15PipelineVersionE0ES6_S7_EELb0EEEvNT_8ArgumentE.uses_flat_scratch, 0
	.set _ZN2ck27kernel_gemm_xdl_cshuffle_v1INS_43GridwiseGemm_k0mk1_k0nk1_mn_xdl_cshuffle_v1INS_13tensor_layout4gemm8RowMajorENS3_11ColumnMajorES4_NS_9f8_fnuz_tENS_10bf8_fnuz_tEffDF16_NS_16tensor_operation12element_wise11PassThroughESA_SA_LNS8_6device18GemmSpecializationE0ELNS_25InMemoryDataOperationEnumE0ELi1ELi256ELi256ELi128ELi64ELi16ELi16ELi16ELi16ELi8ELi2ENS_8SequenceIJLi4ELi64ELi1EEEENSE_IJLi1ELi0ELi2EEEESG_Li2ELi16ELi16ELb0ELi1ESF_SG_SG_Li2ELi8ELi8ELb0ELi1ELi1ELi1ENSE_IJLi1ELi32ELi1ELi8EEEELi4ELNS_13LoopSchedulerE0ELNS_15PipelineVersionE0ES6_S7_EELb0EEEvNT_8ArgumentE.has_dyn_sized_stack, 0
	.set _ZN2ck27kernel_gemm_xdl_cshuffle_v1INS_43GridwiseGemm_k0mk1_k0nk1_mn_xdl_cshuffle_v1INS_13tensor_layout4gemm8RowMajorENS3_11ColumnMajorES4_NS_9f8_fnuz_tENS_10bf8_fnuz_tEffDF16_NS_16tensor_operation12element_wise11PassThroughESA_SA_LNS8_6device18GemmSpecializationE0ELNS_25InMemoryDataOperationEnumE0ELi1ELi256ELi256ELi128ELi64ELi16ELi16ELi16ELi16ELi8ELi2ENS_8SequenceIJLi4ELi64ELi1EEEENSE_IJLi1ELi0ELi2EEEESG_Li2ELi16ELi16ELb0ELi1ESF_SG_SG_Li2ELi8ELi8ELb0ELi1ELi1ELi1ENSE_IJLi1ELi32ELi1ELi8EEEELi4ELNS_13LoopSchedulerE0ELNS_15PipelineVersionE0ES6_S7_EELb0EEEvNT_8ArgumentE.has_recursion, 0
	.set _ZN2ck27kernel_gemm_xdl_cshuffle_v1INS_43GridwiseGemm_k0mk1_k0nk1_mn_xdl_cshuffle_v1INS_13tensor_layout4gemm8RowMajorENS3_11ColumnMajorES4_NS_9f8_fnuz_tENS_10bf8_fnuz_tEffDF16_NS_16tensor_operation12element_wise11PassThroughESA_SA_LNS8_6device18GemmSpecializationE0ELNS_25InMemoryDataOperationEnumE0ELi1ELi256ELi256ELi128ELi64ELi16ELi16ELi16ELi16ELi8ELi2ENS_8SequenceIJLi4ELi64ELi1EEEENSE_IJLi1ELi0ELi2EEEESG_Li2ELi16ELi16ELb0ELi1ESF_SG_SG_Li2ELi8ELi8ELb0ELi1ELi1ELi1ENSE_IJLi1ELi32ELi1ELi8EEEELi4ELNS_13LoopSchedulerE0ELNS_15PipelineVersionE0ES6_S7_EELb0EEEvNT_8ArgumentE.has_indirect_call, 0
	.section	.AMDGPU.csdata,"",@progbits
; Kernel info:
; codeLenInByte = 4792
; TotalNumSgprs: 28
; NumVgprs: 100
; ScratchSize: 0
; MemoryBound: 0
; FloatMode: 240
; IeeeMode: 1
; LDSByteSize: 24672 bytes/workgroup (compile time only)
; SGPRBlocks: 0
; VGPRBlocks: 15
; NumSGPRsForWavesPerEU: 28
; NumVGPRsForWavesPerEU: 121
; Occupancy: 10
; WaveLimiterHint : 0
; COMPUTE_PGM_RSRC2:SCRATCH_EN: 0
; COMPUTE_PGM_RSRC2:USER_SGPR: 2
; COMPUTE_PGM_RSRC2:TRAP_HANDLER: 0
; COMPUTE_PGM_RSRC2:TGID_X_EN: 1
; COMPUTE_PGM_RSRC2:TGID_Y_EN: 0
; COMPUTE_PGM_RSRC2:TGID_Z_EN: 0
; COMPUTE_PGM_RSRC2:TIDIG_COMP_CNT: 0
	.section	.text._ZN2ck17naive_gemm_kernelINS_13tensor_layout4gemm8RowMajorENS2_11ColumnMajorES3_NS_9f8_fnuz_tENS_10bf8_fnuz_tEDF16_fNS_16tensor_operation12element_wise11PassThroughES9_S9_DF16_DF16_EEvPKT2_PKT3_PT4_iiiT6_T7_T8_,"axG",@progbits,_ZN2ck17naive_gemm_kernelINS_13tensor_layout4gemm8RowMajorENS2_11ColumnMajorES3_NS_9f8_fnuz_tENS_10bf8_fnuz_tEDF16_fNS_16tensor_operation12element_wise11PassThroughES9_S9_DF16_DF16_EEvPKT2_PKT3_PT4_iiiT6_T7_T8_,comdat
	.protected	_ZN2ck17naive_gemm_kernelINS_13tensor_layout4gemm8RowMajorENS2_11ColumnMajorES3_NS_9f8_fnuz_tENS_10bf8_fnuz_tEDF16_fNS_16tensor_operation12element_wise11PassThroughES9_S9_DF16_DF16_EEvPKT2_PKT3_PT4_iiiT6_T7_T8_ ; -- Begin function _ZN2ck17naive_gemm_kernelINS_13tensor_layout4gemm8RowMajorENS2_11ColumnMajorES3_NS_9f8_fnuz_tENS_10bf8_fnuz_tEDF16_fNS_16tensor_operation12element_wise11PassThroughES9_S9_DF16_DF16_EEvPKT2_PKT3_PT4_iiiT6_T7_T8_
	.globl	_ZN2ck17naive_gemm_kernelINS_13tensor_layout4gemm8RowMajorENS2_11ColumnMajorES3_NS_9f8_fnuz_tENS_10bf8_fnuz_tEDF16_fNS_16tensor_operation12element_wise11PassThroughES9_S9_DF16_DF16_EEvPKT2_PKT3_PT4_iiiT6_T7_T8_
	.p2align	8
	.type	_ZN2ck17naive_gemm_kernelINS_13tensor_layout4gemm8RowMajorENS2_11ColumnMajorES3_NS_9f8_fnuz_tENS_10bf8_fnuz_tEDF16_fNS_16tensor_operation12element_wise11PassThroughES9_S9_DF16_DF16_EEvPKT2_PKT3_PT4_iiiT6_T7_T8_,@function
_ZN2ck17naive_gemm_kernelINS_13tensor_layout4gemm8RowMajorENS2_11ColumnMajorES3_NS_9f8_fnuz_tENS_10bf8_fnuz_tEDF16_fNS_16tensor_operation12element_wise11PassThroughES9_S9_DF16_DF16_EEvPKT2_PKT3_PT4_iiiT6_T7_T8_: ; @_ZN2ck17naive_gemm_kernelINS_13tensor_layout4gemm8RowMajorENS2_11ColumnMajorES3_NS_9f8_fnuz_tENS_10bf8_fnuz_tEDF16_fNS_16tensor_operation12element_wise11PassThroughES9_S9_DF16_DF16_EEvPKT2_PKT3_PT4_iiiT6_T7_T8_
; %bb.0:
	s_clause 0x1
	s_load_b32 s2, s[0:1], 0x34
	s_load_b96 s[4:6], s[0:1], 0x18
	v_and_b32_e32 v1, 0x3ff, v0
	v_bfe_u32 v2, v0, 10, 10
	s_wait_kmcnt 0x0
	s_lshr_b32 s3, s2, 16
	s_and_b32 s2, s2, 0xffff
	s_delay_alu instid0(VALU_DEP_1) | instid1(SALU_CYCLE_1)
	v_mad_co_u64_u32 v[0:1], null, ttmp9, s2, v[1:2]
	v_mad_co_u64_u32 v[1:2], null, ttmp7, s3, v[2:3]
	s_delay_alu instid0(VALU_DEP_2) | instskip(NEXT) | instid1(VALU_DEP_2)
	v_cmp_gt_i32_e32 vcc_lo, s4, v0
	v_cmp_gt_i32_e64 s2, s5, v1
	s_and_b32 s2, vcc_lo, s2
	s_wait_alu 0xfffe
	s_and_saveexec_b32 s3, s2
	s_cbranch_execz .LBB5_23
; %bb.1:
	s_load_b64 s[8:9], s[0:1], 0x10
	s_cmp_lt_i32 s6, 1
	s_cbranch_scc1 .LBB5_21
; %bb.2:
	s_load_b128 s[0:3], s[0:1], 0x0
	v_mul_lo_u32 v2, v0, s6
	v_mul_lo_u32 v4, v1, s6
	v_mov_b32_e32 v5, 0
	s_delay_alu instid0(VALU_DEP_3) | instskip(SKIP_2) | instid1(VALU_DEP_1)
	v_ashrrev_i32_e32 v3, 31, v2
	s_wait_kmcnt 0x0
	v_add_co_u32 v2, vcc_lo, s0, v2
	v_add_co_ci_u32_e64 v3, null, s1, v3, vcc_lo
	s_branch .LBB5_4
.LBB5_3:                                ;   in Loop: Header=BB5_4 Depth=1
	s_wait_alu 0xfffe
	s_or_b32 exec_lo, exec_lo, s0
	v_add_co_u32 v2, vcc_lo, v2, 1
	v_fmac_f32_e32 v5, v6, v8
	v_add_nc_u32_e32 v4, 1, v4
	s_wait_alu 0xfffd
	v_add_co_ci_u32_e64 v3, null, 0, v3, vcc_lo
	s_add_co_i32 s6, s6, -1
	s_wait_alu 0xfffe
	s_cmp_eq_u32 s6, 0
	s_cbranch_scc1 .LBB5_20
.LBB5_4:                                ; =>This Inner Loop Header: Depth=1
	global_load_u8 v7, v[2:3], off
	s_mov_b32 s1, 0
	s_mov_b32 s0, exec_lo
	s_wait_loadcnt 0x0
	v_cmpx_lt_i16_e32 0x7f, v7
	s_wait_alu 0xfffe
	s_xor_b32 s0, exec_lo, s0
	s_cbranch_execnz .LBB5_11
; %bb.5:                                ;   in Loop: Header=BB5_4 Depth=1
	s_wait_alu 0xfffe
	s_or_saveexec_b32 s0, s0
	v_mov_b32_e32 v6, 0x7fc02000
	s_wait_alu 0xfffe
	s_xor_b32 exec_lo, exec_lo, s0
	s_cbranch_execnz .LBB5_14
.LBB5_6:                                ;   in Loop: Header=BB5_4 Depth=1
	s_or_b32 exec_lo, exec_lo, s0
	s_and_saveexec_b32 s0, s1
	s_cbranch_execz .LBB5_8
.LBB5_7:                                ;   in Loop: Header=BB5_4 Depth=1
	v_and_b32_e32 v6, 7, v7
	v_lshrrev_b16 v9, 3, v7
	v_lshrrev_b16 v7, 7, v7
	s_delay_alu instid0(VALU_DEP_3) | instskip(NEXT) | instid1(VALU_DEP_2)
	v_clz_i32_u32_e32 v8, v6
	v_lshlrev_b32_e32 v7, 15, v7
	s_delay_alu instid0(VALU_DEP_2) | instskip(NEXT) | instid1(VALU_DEP_1)
	v_min_u32_e32 v8, 32, v8
	v_subrev_nc_u32_e32 v10, 28, v8
	v_sub_nc_u32_e32 v8, 29, v8
	s_delay_alu instid0(VALU_DEP_2) | instskip(NEXT) | instid1(VALU_DEP_1)
	v_lshlrev_b32_e32 v10, v10, v6
	v_and_b32_e32 v10, 7, v10
	v_and_b32_e32 v9, 15, v9
	s_delay_alu instid0(VALU_DEP_1) | instskip(SKIP_1) | instid1(VALU_DEP_3)
	v_cmp_eq_u16_e32 vcc_lo, 0, v9
	s_wait_alu 0xfffd
	v_dual_cndmask_b32 v6, v6, v10 :: v_dual_and_b32 v11, 0xffff, v9
	s_delay_alu instid0(VALU_DEP_1) | instskip(NEXT) | instid1(VALU_DEP_2)
	v_lshlrev_b32_e32 v6, 7, v6
	v_cndmask_b32_e32 v8, v11, v8, vcc_lo
	s_delay_alu instid0(VALU_DEP_1) | instskip(NEXT) | instid1(VALU_DEP_1)
	v_lshl_add_u32 v8, v8, 10, 0x1c00
	v_or3_b32 v6, v7, v8, v6
	s_delay_alu instid0(VALU_DEP_1)
	v_cvt_f32_f16_e32 v6, v6
.LBB5_8:                                ;   in Loop: Header=BB5_4 Depth=1
	s_wait_alu 0xfffe
	s_or_b32 exec_lo, exec_lo, s0
	v_ashrrev_i32_e32 v8, 31, v4
	v_add_co_u32 v7, vcc_lo, s2, v4
	s_mov_b32 s1, 0
	s_mov_b32 s0, exec_lo
	s_wait_alu 0xfffd
	v_add_co_ci_u32_e64 v8, null, s3, v8, vcc_lo
	global_load_u8 v7, v[7:8], off
	s_wait_loadcnt 0x0
	v_cmpx_lt_i16_e32 0x7f, v7
	s_wait_alu 0xfffe
	s_xor_b32 s0, exec_lo, s0
	s_cbranch_execnz .LBB5_15
; %bb.9:                                ;   in Loop: Header=BB5_4 Depth=1
	s_wait_alu 0xfffe
	s_or_saveexec_b32 s0, s0
	v_mov_b32_e32 v8, 0x7fc02000
	s_wait_alu 0xfffe
	s_xor_b32 exec_lo, exec_lo, s0
	s_cbranch_execnz .LBB5_18
.LBB5_10:                               ;   in Loop: Header=BB5_4 Depth=1
	s_or_b32 exec_lo, exec_lo, s0
	s_and_saveexec_b32 s0, s1
	s_cbranch_execz .LBB5_3
	s_branch .LBB5_19
.LBB5_11:                               ;   in Loop: Header=BB5_4 Depth=1
	s_mov_b32 s1, -1
	s_mov_b32 s4, exec_lo
	v_cmpx_eq_u16_e32 0x80, v7
; %bb.12:                               ;   in Loop: Header=BB5_4 Depth=1
	s_xor_b32 s1, exec_lo, -1
; %bb.13:                               ;   in Loop: Header=BB5_4 Depth=1
	s_wait_alu 0xfffe
	s_or_b32 exec_lo, exec_lo, s4
	s_delay_alu instid0(SALU_CYCLE_1)
	s_and_b32 s1, s1, exec_lo
	s_or_saveexec_b32 s0, s0
	v_mov_b32_e32 v6, 0x7fc02000
	s_wait_alu 0xfffe
	s_xor_b32 exec_lo, exec_lo, s0
	s_cbranch_execz .LBB5_6
.LBB5_14:                               ;   in Loop: Header=BB5_4 Depth=1
	v_cmp_ne_u16_e32 vcc_lo, 0, v7
	v_mov_b32_e32 v6, 0
	s_and_not1_b32 s1, s1, exec_lo
	s_and_b32 s4, vcc_lo, exec_lo
	s_wait_alu 0xfffe
	s_or_b32 s1, s1, s4
	s_or_b32 exec_lo, exec_lo, s0
	s_wait_alu 0xfffe
	s_and_saveexec_b32 s0, s1
	s_cbranch_execnz .LBB5_7
	s_branch .LBB5_8
.LBB5_15:                               ;   in Loop: Header=BB5_4 Depth=1
	s_mov_b32 s1, -1
	s_mov_b32 s4, exec_lo
	v_cmpx_eq_u16_e32 0x80, v7
; %bb.16:                               ;   in Loop: Header=BB5_4 Depth=1
	s_xor_b32 s1, exec_lo, -1
; %bb.17:                               ;   in Loop: Header=BB5_4 Depth=1
	s_wait_alu 0xfffe
	s_or_b32 exec_lo, exec_lo, s4
	s_delay_alu instid0(SALU_CYCLE_1)
	s_and_b32 s1, s1, exec_lo
	s_or_saveexec_b32 s0, s0
	v_mov_b32_e32 v8, 0x7fc02000
	s_wait_alu 0xfffe
	s_xor_b32 exec_lo, exec_lo, s0
	s_cbranch_execz .LBB5_10
.LBB5_18:                               ;   in Loop: Header=BB5_4 Depth=1
	v_cmp_ne_u16_e32 vcc_lo, 0, v7
	v_mov_b32_e32 v8, 0
	s_and_not1_b32 s1, s1, exec_lo
	s_and_b32 s4, vcc_lo, exec_lo
	s_wait_alu 0xfffe
	s_or_b32 s1, s1, s4
	s_or_b32 exec_lo, exec_lo, s0
	s_wait_alu 0xfffe
	s_and_saveexec_b32 s0, s1
	s_cbranch_execz .LBB5_3
.LBB5_19:                               ;   in Loop: Header=BB5_4 Depth=1
	v_lshrrev_b16 v11, 2, v7
	s_delay_alu instid0(VALU_DEP_1) | instskip(NEXT) | instid1(VALU_DEP_1)
	v_and_b32_e32 v11, 31, v11
	v_and_b32_e32 v12, 0xffff, v11
	v_cmp_eq_u16_e32 vcc_lo, 0, v11
	v_and_b32_e32 v8, 3, v7
	v_lshrrev_b16 v7, 7, v7
	s_delay_alu instid0(VALU_DEP_2) | instskip(NEXT) | instid1(VALU_DEP_1)
	v_clz_i32_u32_e32 v9, v8
	v_min_u32_e32 v9, 32, v9
	s_delay_alu instid0(VALU_DEP_1) | instskip(SKIP_2) | instid1(VALU_DEP_1)
	v_subrev_nc_u32_e32 v10, 29, v9
	v_sub_nc_u32_e32 v9, 30, v9
	s_wait_alu 0xfffd
	v_dual_cndmask_b32 v9, v12, v9 :: v_dual_lshlrev_b32 v10, v10, v8
	s_delay_alu instid0(VALU_DEP_1) | instskip(NEXT) | instid1(VALU_DEP_1)
	v_and_b32_e32 v10, 3, v10
	v_cndmask_b32_e32 v8, v8, v10, vcc_lo
	s_delay_alu instid0(VALU_DEP_3) | instskip(SKIP_1) | instid1(VALU_DEP_3)
	v_sub_nc_u32_e32 v10, 2, v9
	v_cmp_gt_i32_e32 vcc_lo, 2, v9
	v_lshlrev_b32_e32 v8, 8, v8
	s_delay_alu instid0(VALU_DEP_1) | instskip(NEXT) | instid1(VALU_DEP_1)
	v_or_b32_e32 v11, 0x400, v8
	v_lshrrev_b32_e32 v10, v10, v11
	v_max_i32_e32 v11, 1, v9
	s_wait_alu 0xfffd
	s_delay_alu instid0(VALU_DEP_2) | instskip(NEXT) | instid1(VALU_DEP_2)
	v_dual_cndmask_b32 v8, v8, v10 :: v_dual_lshlrev_b32 v7, 15, v7
	v_lshl_add_u32 v9, v11, 10, 0xfc00
	s_delay_alu instid0(VALU_DEP_1) | instskip(NEXT) | instid1(VALU_DEP_1)
	v_or3_b32 v7, v9, v7, v8
	v_cvt_f32_f16_e32 v8, v7
	s_branch .LBB5_3
.LBB5_20:
	v_cvt_f16_f32_e32 v2, v5
	s_branch .LBB5_22
.LBB5_21:
	v_mov_b32_e32 v2, 0
.LBB5_22:
	s_delay_alu instid0(VALU_DEP_1) | instskip(NEXT) | instid1(VALU_DEP_1)
	v_mad_co_u64_u32 v[0:1], null, v0, s5, v[1:2]
	v_ashrrev_i32_e32 v1, 31, v0
	s_delay_alu instid0(VALU_DEP_1) | instskip(SKIP_1) | instid1(VALU_DEP_1)
	v_lshlrev_b64_e32 v[0:1], 1, v[0:1]
	s_wait_kmcnt 0x0
	v_add_co_u32 v0, vcc_lo, s8, v0
	s_wait_alu 0xfffd
	s_delay_alu instid0(VALU_DEP_2)
	v_add_co_ci_u32_e64 v1, null, s9, v1, vcc_lo
	global_store_b16 v[0:1], v2, off
.LBB5_23:
	s_endpgm
	.section	.rodata,"a",@progbits
	.p2align	6, 0x0
	.amdhsa_kernel _ZN2ck17naive_gemm_kernelINS_13tensor_layout4gemm8RowMajorENS2_11ColumnMajorES3_NS_9f8_fnuz_tENS_10bf8_fnuz_tEDF16_fNS_16tensor_operation12element_wise11PassThroughES9_S9_DF16_DF16_EEvPKT2_PKT3_PT4_iiiT6_T7_T8_
		.amdhsa_group_segment_fixed_size 0
		.amdhsa_private_segment_fixed_size 0
		.amdhsa_kernarg_size 296
		.amdhsa_user_sgpr_count 2
		.amdhsa_user_sgpr_dispatch_ptr 0
		.amdhsa_user_sgpr_queue_ptr 0
		.amdhsa_user_sgpr_kernarg_segment_ptr 1
		.amdhsa_user_sgpr_dispatch_id 0
		.amdhsa_user_sgpr_private_segment_size 0
		.amdhsa_wavefront_size32 1
		.amdhsa_uses_dynamic_stack 0
		.amdhsa_enable_private_segment 0
		.amdhsa_system_sgpr_workgroup_id_x 1
		.amdhsa_system_sgpr_workgroup_id_y 1
		.amdhsa_system_sgpr_workgroup_id_z 0
		.amdhsa_system_sgpr_workgroup_info 0
		.amdhsa_system_vgpr_workitem_id 1
		.amdhsa_next_free_vgpr 13
		.amdhsa_next_free_sgpr 10
		.amdhsa_reserve_vcc 1
		.amdhsa_float_round_mode_32 0
		.amdhsa_float_round_mode_16_64 0
		.amdhsa_float_denorm_mode_32 3
		.amdhsa_float_denorm_mode_16_64 3
		.amdhsa_fp16_overflow 0
		.amdhsa_workgroup_processor_mode 1
		.amdhsa_memory_ordered 1
		.amdhsa_forward_progress 1
		.amdhsa_inst_pref_size 8
		.amdhsa_round_robin_scheduling 0
		.amdhsa_exception_fp_ieee_invalid_op 0
		.amdhsa_exception_fp_denorm_src 0
		.amdhsa_exception_fp_ieee_div_zero 0
		.amdhsa_exception_fp_ieee_overflow 0
		.amdhsa_exception_fp_ieee_underflow 0
		.amdhsa_exception_fp_ieee_inexact 0
		.amdhsa_exception_int_div_zero 0
	.end_amdhsa_kernel
	.section	.text._ZN2ck17naive_gemm_kernelINS_13tensor_layout4gemm8RowMajorENS2_11ColumnMajorES3_NS_9f8_fnuz_tENS_10bf8_fnuz_tEDF16_fNS_16tensor_operation12element_wise11PassThroughES9_S9_DF16_DF16_EEvPKT2_PKT3_PT4_iiiT6_T7_T8_,"axG",@progbits,_ZN2ck17naive_gemm_kernelINS_13tensor_layout4gemm8RowMajorENS2_11ColumnMajorES3_NS_9f8_fnuz_tENS_10bf8_fnuz_tEDF16_fNS_16tensor_operation12element_wise11PassThroughES9_S9_DF16_DF16_EEvPKT2_PKT3_PT4_iiiT6_T7_T8_,comdat
.Lfunc_end5:
	.size	_ZN2ck17naive_gemm_kernelINS_13tensor_layout4gemm8RowMajorENS2_11ColumnMajorES3_NS_9f8_fnuz_tENS_10bf8_fnuz_tEDF16_fNS_16tensor_operation12element_wise11PassThroughES9_S9_DF16_DF16_EEvPKT2_PKT3_PT4_iiiT6_T7_T8_, .Lfunc_end5-_ZN2ck17naive_gemm_kernelINS_13tensor_layout4gemm8RowMajorENS2_11ColumnMajorES3_NS_9f8_fnuz_tENS_10bf8_fnuz_tEDF16_fNS_16tensor_operation12element_wise11PassThroughES9_S9_DF16_DF16_EEvPKT2_PKT3_PT4_iiiT6_T7_T8_
                                        ; -- End function
	.set _ZN2ck17naive_gemm_kernelINS_13tensor_layout4gemm8RowMajorENS2_11ColumnMajorES3_NS_9f8_fnuz_tENS_10bf8_fnuz_tEDF16_fNS_16tensor_operation12element_wise11PassThroughES9_S9_DF16_DF16_EEvPKT2_PKT3_PT4_iiiT6_T7_T8_.num_vgpr, 13
	.set _ZN2ck17naive_gemm_kernelINS_13tensor_layout4gemm8RowMajorENS2_11ColumnMajorES3_NS_9f8_fnuz_tENS_10bf8_fnuz_tEDF16_fNS_16tensor_operation12element_wise11PassThroughES9_S9_DF16_DF16_EEvPKT2_PKT3_PT4_iiiT6_T7_T8_.num_agpr, 0
	.set _ZN2ck17naive_gemm_kernelINS_13tensor_layout4gemm8RowMajorENS2_11ColumnMajorES3_NS_9f8_fnuz_tENS_10bf8_fnuz_tEDF16_fNS_16tensor_operation12element_wise11PassThroughES9_S9_DF16_DF16_EEvPKT2_PKT3_PT4_iiiT6_T7_T8_.numbered_sgpr, 10
	.set _ZN2ck17naive_gemm_kernelINS_13tensor_layout4gemm8RowMajorENS2_11ColumnMajorES3_NS_9f8_fnuz_tENS_10bf8_fnuz_tEDF16_fNS_16tensor_operation12element_wise11PassThroughES9_S9_DF16_DF16_EEvPKT2_PKT3_PT4_iiiT6_T7_T8_.num_named_barrier, 0
	.set _ZN2ck17naive_gemm_kernelINS_13tensor_layout4gemm8RowMajorENS2_11ColumnMajorES3_NS_9f8_fnuz_tENS_10bf8_fnuz_tEDF16_fNS_16tensor_operation12element_wise11PassThroughES9_S9_DF16_DF16_EEvPKT2_PKT3_PT4_iiiT6_T7_T8_.private_seg_size, 0
	.set _ZN2ck17naive_gemm_kernelINS_13tensor_layout4gemm8RowMajorENS2_11ColumnMajorES3_NS_9f8_fnuz_tENS_10bf8_fnuz_tEDF16_fNS_16tensor_operation12element_wise11PassThroughES9_S9_DF16_DF16_EEvPKT2_PKT3_PT4_iiiT6_T7_T8_.uses_vcc, 1
	.set _ZN2ck17naive_gemm_kernelINS_13tensor_layout4gemm8RowMajorENS2_11ColumnMajorES3_NS_9f8_fnuz_tENS_10bf8_fnuz_tEDF16_fNS_16tensor_operation12element_wise11PassThroughES9_S9_DF16_DF16_EEvPKT2_PKT3_PT4_iiiT6_T7_T8_.uses_flat_scratch, 0
	.set _ZN2ck17naive_gemm_kernelINS_13tensor_layout4gemm8RowMajorENS2_11ColumnMajorES3_NS_9f8_fnuz_tENS_10bf8_fnuz_tEDF16_fNS_16tensor_operation12element_wise11PassThroughES9_S9_DF16_DF16_EEvPKT2_PKT3_PT4_iiiT6_T7_T8_.has_dyn_sized_stack, 0
	.set _ZN2ck17naive_gemm_kernelINS_13tensor_layout4gemm8RowMajorENS2_11ColumnMajorES3_NS_9f8_fnuz_tENS_10bf8_fnuz_tEDF16_fNS_16tensor_operation12element_wise11PassThroughES9_S9_DF16_DF16_EEvPKT2_PKT3_PT4_iiiT6_T7_T8_.has_recursion, 0
	.set _ZN2ck17naive_gemm_kernelINS_13tensor_layout4gemm8RowMajorENS2_11ColumnMajorES3_NS_9f8_fnuz_tENS_10bf8_fnuz_tEDF16_fNS_16tensor_operation12element_wise11PassThroughES9_S9_DF16_DF16_EEvPKT2_PKT3_PT4_iiiT6_T7_T8_.has_indirect_call, 0
	.section	.AMDGPU.csdata,"",@progbits
; Kernel info:
; codeLenInByte = 1024
; TotalNumSgprs: 12
; NumVgprs: 13
; ScratchSize: 0
; MemoryBound: 0
; FloatMode: 240
; IeeeMode: 1
; LDSByteSize: 0 bytes/workgroup (compile time only)
; SGPRBlocks: 0
; VGPRBlocks: 1
; NumSGPRsForWavesPerEU: 12
; NumVGPRsForWavesPerEU: 13
; Occupancy: 16
; WaveLimiterHint : 0
; COMPUTE_PGM_RSRC2:SCRATCH_EN: 0
; COMPUTE_PGM_RSRC2:USER_SGPR: 2
; COMPUTE_PGM_RSRC2:TRAP_HANDLER: 0
; COMPUTE_PGM_RSRC2:TGID_X_EN: 1
; COMPUTE_PGM_RSRC2:TGID_Y_EN: 1
; COMPUTE_PGM_RSRC2:TGID_Z_EN: 0
; COMPUTE_PGM_RSRC2:TIDIG_COMP_CNT: 1
	.section	.AMDGPU.gpr_maximums,"",@progbits
	.set amdgpu.max_num_vgpr, 0
	.set amdgpu.max_num_agpr, 0
	.set amdgpu.max_num_sgpr, 0
	.section	.AMDGPU.csdata,"",@progbits
	.type	__hip_cuid_11c9f0e10721b50d,@object ; @__hip_cuid_11c9f0e10721b50d
	.section	.bss,"aw",@nobits
	.globl	__hip_cuid_11c9f0e10721b50d
__hip_cuid_11c9f0e10721b50d:
	.byte	0                               ; 0x0
	.size	__hip_cuid_11c9f0e10721b50d, 1

	.ident	"AMD clang version 22.0.0git (https://github.com/RadeonOpenCompute/llvm-project roc-7.2.4 26084 f58b06dce1f9c15707c5f808fd002e18c2accf7e)"
	.section	".note.GNU-stack","",@progbits
	.addrsig
	.addrsig_sym __hip_cuid_11c9f0e10721b50d
	.amdgpu_metadata
---
amdhsa.kernels:
  - .args:           []
    .group_segment_fixed_size: 0
    .kernarg_segment_align: 4
    .kernarg_segment_size: 0
    .language:       OpenCL C
    .language_version:
      - 2
      - 0
    .max_flat_workgroup_size: 1024
    .name:           _ZN2ckL12flush_icacheEv
    .private_segment_fixed_size: 0
    .sgpr_count:     0
    .sgpr_spill_count: 0
    .symbol:         _ZN2ckL12flush_icacheEv.kd
    .uniform_work_group_size: 1
    .uses_dynamic_stack: false
    .vgpr_count:     0
    .vgpr_spill_count: 0
    .wavefront_size: 32
    .workgroup_processor_mode: 1
  - .args:
      - .offset:         0
        .size:           96
        .value_kind:     by_value
    .group_segment_fixed_size: 0
    .kernarg_segment_align: 8
    .kernarg_segment_size: 96
    .language:       OpenCL C
    .language_version:
      - 2
      - 0
    .max_flat_workgroup_size: 256
    .name:           _ZN2ck27kernel_gemm_xdl_cshuffle_v1INS_43GridwiseGemm_k0mk1_k0nk1_mn_xdl_cshuffle_v1INS_13tensor_layout4gemm8RowMajorENS3_11ColumnMajorES4_NS_9f8_fnuz_tENS_10bf8_fnuz_tEffDF16_NS_16tensor_operation12element_wise11PassThroughESA_SA_LNS8_6device18GemmSpecializationE0ELNS_25InMemoryDataOperationEnumE0ELi1ELi256ELi256ELi128ELi64ELi16ELi16ELi16ELi16ELi8ELi4ENS_8SequenceIJLi4ELi64ELi1EEEENSE_IJLi1ELi0ELi2EEEESG_Li2ELi16ELi16ELb0ELi1ESF_SG_SG_Li2ELi8ELi8ELb0ELi1ELi1ELi1ENSE_IJLi1ELi32ELi1ELi8EEEELi4ELNS_13LoopSchedulerE0ELNS_15PipelineVersionE0ES6_S7_EELb1EEEvNT_8ArgumentE
    .private_segment_fixed_size: 0
    .sgpr_count:     0
    .sgpr_spill_count: 0
    .symbol:         _ZN2ck27kernel_gemm_xdl_cshuffle_v1INS_43GridwiseGemm_k0mk1_k0nk1_mn_xdl_cshuffle_v1INS_13tensor_layout4gemm8RowMajorENS3_11ColumnMajorES4_NS_9f8_fnuz_tENS_10bf8_fnuz_tEffDF16_NS_16tensor_operation12element_wise11PassThroughESA_SA_LNS8_6device18GemmSpecializationE0ELNS_25InMemoryDataOperationEnumE0ELi1ELi256ELi256ELi128ELi64ELi16ELi16ELi16ELi16ELi8ELi4ENS_8SequenceIJLi4ELi64ELi1EEEENSE_IJLi1ELi0ELi2EEEESG_Li2ELi16ELi16ELb0ELi1ESF_SG_SG_Li2ELi8ELi8ELb0ELi1ELi1ELi1ENSE_IJLi1ELi32ELi1ELi8EEEELi4ELNS_13LoopSchedulerE0ELNS_15PipelineVersionE0ES6_S7_EELb1EEEvNT_8ArgumentE.kd
    .uniform_work_group_size: 1
    .uses_dynamic_stack: false
    .vgpr_count:     0
    .vgpr_spill_count: 0
    .wavefront_size: 32
    .workgroup_processor_mode: 1
  - .args:
      - .offset:         0
        .size:           96
        .value_kind:     by_value
    .group_segment_fixed_size: 0
    .kernarg_segment_align: 8
    .kernarg_segment_size: 96
    .language:       OpenCL C
    .language_version:
      - 2
      - 0
    .max_flat_workgroup_size: 256
    .name:           _ZN2ck27kernel_gemm_xdl_cshuffle_v1INS_43GridwiseGemm_k0mk1_k0nk1_mn_xdl_cshuffle_v1INS_13tensor_layout4gemm8RowMajorENS3_11ColumnMajorES4_NS_9f8_fnuz_tENS_10bf8_fnuz_tEffDF16_NS_16tensor_operation12element_wise11PassThroughESA_SA_LNS8_6device18GemmSpecializationE0ELNS_25InMemoryDataOperationEnumE0ELi1ELi256ELi256ELi128ELi64ELi16ELi16ELi16ELi16ELi8ELi4ENS_8SequenceIJLi4ELi64ELi1EEEENSE_IJLi1ELi0ELi2EEEESG_Li2ELi16ELi16ELb0ELi1ESF_SG_SG_Li2ELi8ELi8ELb0ELi1ELi1ELi1ENSE_IJLi1ELi32ELi1ELi8EEEELi4ELNS_13LoopSchedulerE0ELNS_15PipelineVersionE0ES6_S7_EELb0EEEvNT_8ArgumentE
    .private_segment_fixed_size: 0
    .sgpr_count:     0
    .sgpr_spill_count: 0
    .symbol:         _ZN2ck27kernel_gemm_xdl_cshuffle_v1INS_43GridwiseGemm_k0mk1_k0nk1_mn_xdl_cshuffle_v1INS_13tensor_layout4gemm8RowMajorENS3_11ColumnMajorES4_NS_9f8_fnuz_tENS_10bf8_fnuz_tEffDF16_NS_16tensor_operation12element_wise11PassThroughESA_SA_LNS8_6device18GemmSpecializationE0ELNS_25InMemoryDataOperationEnumE0ELi1ELi256ELi256ELi128ELi64ELi16ELi16ELi16ELi16ELi8ELi4ENS_8SequenceIJLi4ELi64ELi1EEEENSE_IJLi1ELi0ELi2EEEESG_Li2ELi16ELi16ELb0ELi1ESF_SG_SG_Li2ELi8ELi8ELb0ELi1ELi1ELi1ENSE_IJLi1ELi32ELi1ELi8EEEELi4ELNS_13LoopSchedulerE0ELNS_15PipelineVersionE0ES6_S7_EELb0EEEvNT_8ArgumentE.kd
    .uniform_work_group_size: 1
    .uses_dynamic_stack: false
    .vgpr_count:     0
    .vgpr_spill_count: 0
    .wavefront_size: 32
    .workgroup_processor_mode: 1
  - .args:
      - .offset:         0
        .size:           96
        .value_kind:     by_value
    .group_segment_fixed_size: 24672
    .kernarg_segment_align: 8
    .kernarg_segment_size: 96
    .language:       OpenCL C
    .language_version:
      - 2
      - 0
    .max_flat_workgroup_size: 256
    .name:           _ZN2ck27kernel_gemm_xdl_cshuffle_v1INS_43GridwiseGemm_k0mk1_k0nk1_mn_xdl_cshuffle_v1INS_13tensor_layout4gemm8RowMajorENS3_11ColumnMajorES4_NS_9f8_fnuz_tENS_10bf8_fnuz_tEffDF16_NS_16tensor_operation12element_wise11PassThroughESA_SA_LNS8_6device18GemmSpecializationE0ELNS_25InMemoryDataOperationEnumE0ELi1ELi256ELi256ELi128ELi64ELi16ELi16ELi16ELi16ELi8ELi2ENS_8SequenceIJLi4ELi64ELi1EEEENSE_IJLi1ELi0ELi2EEEESG_Li2ELi16ELi16ELb0ELi1ESF_SG_SG_Li2ELi8ELi8ELb0ELi1ELi1ELi1ENSE_IJLi1ELi32ELi1ELi8EEEELi4ELNS_13LoopSchedulerE0ELNS_15PipelineVersionE0ES6_S7_EELb1EEEvNT_8ArgumentE
    .private_segment_fixed_size: 0
    .sgpr_count:     32
    .sgpr_spill_count: 0
    .symbol:         _ZN2ck27kernel_gemm_xdl_cshuffle_v1INS_43GridwiseGemm_k0mk1_k0nk1_mn_xdl_cshuffle_v1INS_13tensor_layout4gemm8RowMajorENS3_11ColumnMajorES4_NS_9f8_fnuz_tENS_10bf8_fnuz_tEffDF16_NS_16tensor_operation12element_wise11PassThroughESA_SA_LNS8_6device18GemmSpecializationE0ELNS_25InMemoryDataOperationEnumE0ELi1ELi256ELi256ELi128ELi64ELi16ELi16ELi16ELi16ELi8ELi2ENS_8SequenceIJLi4ELi64ELi1EEEENSE_IJLi1ELi0ELi2EEEESG_Li2ELi16ELi16ELb0ELi1ESF_SG_SG_Li2ELi8ELi8ELb0ELi1ELi1ELi1ENSE_IJLi1ELi32ELi1ELi8EEEELi4ELNS_13LoopSchedulerE0ELNS_15PipelineVersionE0ES6_S7_EELb1EEEvNT_8ArgumentE.kd
    .uniform_work_group_size: 1
    .uses_dynamic_stack: false
    .vgpr_count:     189
    .vgpr_spill_count: 0
    .wavefront_size: 32
    .workgroup_processor_mode: 1
  - .args:
      - .offset:         0
        .size:           96
        .value_kind:     by_value
    .group_segment_fixed_size: 24672
    .kernarg_segment_align: 8
    .kernarg_segment_size: 96
    .language:       OpenCL C
    .language_version:
      - 2
      - 0
    .max_flat_workgroup_size: 256
    .name:           _ZN2ck27kernel_gemm_xdl_cshuffle_v1INS_43GridwiseGemm_k0mk1_k0nk1_mn_xdl_cshuffle_v1INS_13tensor_layout4gemm8RowMajorENS3_11ColumnMajorES4_NS_9f8_fnuz_tENS_10bf8_fnuz_tEffDF16_NS_16tensor_operation12element_wise11PassThroughESA_SA_LNS8_6device18GemmSpecializationE0ELNS_25InMemoryDataOperationEnumE0ELi1ELi256ELi256ELi128ELi64ELi16ELi16ELi16ELi16ELi8ELi2ENS_8SequenceIJLi4ELi64ELi1EEEENSE_IJLi1ELi0ELi2EEEESG_Li2ELi16ELi16ELb0ELi1ESF_SG_SG_Li2ELi8ELi8ELb0ELi1ELi1ELi1ENSE_IJLi1ELi32ELi1ELi8EEEELi4ELNS_13LoopSchedulerE0ELNS_15PipelineVersionE0ES6_S7_EELb0EEEvNT_8ArgumentE
    .private_segment_fixed_size: 0
    .sgpr_count:     28
    .sgpr_spill_count: 0
    .symbol:         _ZN2ck27kernel_gemm_xdl_cshuffle_v1INS_43GridwiseGemm_k0mk1_k0nk1_mn_xdl_cshuffle_v1INS_13tensor_layout4gemm8RowMajorENS3_11ColumnMajorES4_NS_9f8_fnuz_tENS_10bf8_fnuz_tEffDF16_NS_16tensor_operation12element_wise11PassThroughESA_SA_LNS8_6device18GemmSpecializationE0ELNS_25InMemoryDataOperationEnumE0ELi1ELi256ELi256ELi128ELi64ELi16ELi16ELi16ELi16ELi8ELi2ENS_8SequenceIJLi4ELi64ELi1EEEENSE_IJLi1ELi0ELi2EEEESG_Li2ELi16ELi16ELb0ELi1ESF_SG_SG_Li2ELi8ELi8ELb0ELi1ELi1ELi1ENSE_IJLi1ELi32ELi1ELi8EEEELi4ELNS_13LoopSchedulerE0ELNS_15PipelineVersionE0ES6_S7_EELb0EEEvNT_8ArgumentE.kd
    .uniform_work_group_size: 1
    .uses_dynamic_stack: false
    .vgpr_count:     100
    .vgpr_spill_count: 0
    .wavefront_size: 32
    .workgroup_processor_mode: 1
  - .args:
      - .actual_access:  read_only
        .address_space:  global
        .offset:         0
        .size:           8
        .value_kind:     global_buffer
      - .actual_access:  read_only
        .address_space:  global
        .offset:         8
        .size:           8
        .value_kind:     global_buffer
      - .actual_access:  write_only
        .address_space:  global
        .offset:         16
        .size:           8
        .value_kind:     global_buffer
      - .offset:         24
        .size:           4
        .value_kind:     by_value
      - .offset:         28
        .size:           4
        .value_kind:     by_value
      - .offset:         32
        .size:           4
        .value_kind:     by_value
      - .offset:         36
        .size:           1
        .value_kind:     by_value
      - .offset:         37
        .size:           1
        .value_kind:     by_value
      - .offset:         38
        .size:           1
        .value_kind:     by_value
      - .offset:         40
        .size:           4
        .value_kind:     hidden_block_count_x
      - .offset:         44
        .size:           4
        .value_kind:     hidden_block_count_y
      - .offset:         48
        .size:           4
        .value_kind:     hidden_block_count_z
      - .offset:         52
        .size:           2
        .value_kind:     hidden_group_size_x
      - .offset:         54
        .size:           2
        .value_kind:     hidden_group_size_y
      - .offset:         56
        .size:           2
        .value_kind:     hidden_group_size_z
      - .offset:         58
        .size:           2
        .value_kind:     hidden_remainder_x
      - .offset:         60
        .size:           2
        .value_kind:     hidden_remainder_y
      - .offset:         62
        .size:           2
        .value_kind:     hidden_remainder_z
      - .offset:         80
        .size:           8
        .value_kind:     hidden_global_offset_x
      - .offset:         88
        .size:           8
        .value_kind:     hidden_global_offset_y
      - .offset:         96
        .size:           8
        .value_kind:     hidden_global_offset_z
      - .offset:         104
        .size:           2
        .value_kind:     hidden_grid_dims
    .group_segment_fixed_size: 0
    .kernarg_segment_align: 8
    .kernarg_segment_size: 296
    .language:       OpenCL C
    .language_version:
      - 2
      - 0
    .max_flat_workgroup_size: 256
    .name:           _ZN2ck17naive_gemm_kernelINS_13tensor_layout4gemm8RowMajorENS2_11ColumnMajorES3_NS_9f8_fnuz_tENS_10bf8_fnuz_tEDF16_fNS_16tensor_operation12element_wise11PassThroughES9_S9_DF16_DF16_EEvPKT2_PKT3_PT4_iiiT6_T7_T8_
    .private_segment_fixed_size: 0
    .sgpr_count:     12
    .sgpr_spill_count: 0
    .symbol:         _ZN2ck17naive_gemm_kernelINS_13tensor_layout4gemm8RowMajorENS2_11ColumnMajorES3_NS_9f8_fnuz_tENS_10bf8_fnuz_tEDF16_fNS_16tensor_operation12element_wise11PassThroughES9_S9_DF16_DF16_EEvPKT2_PKT3_PT4_iiiT6_T7_T8_.kd
    .uniform_work_group_size: 1
    .uses_dynamic_stack: false
    .vgpr_count:     13
    .vgpr_spill_count: 0
    .wavefront_size: 32
    .workgroup_processor_mode: 1
amdhsa.target:   amdgcn-amd-amdhsa--gfx1201
amdhsa.version:
  - 1
  - 2
...

	.end_amdgpu_metadata
